;; amdgpu-corpus repo=llvm/llvm-project kind=harvested arch=n/a opt=n/a
// NOTE: Assertions have been autogenerated by utils/update_mc_test_checks.py UTC_ARGS: --version 6
// RUN: llvm-mc -triple=amdgcn -mcpu=gfx1310 -show-encoding %s | FileCheck -check-prefixes=GFX13,GFX13-ASM %s
// RUN: llvm-mc -triple=amdgcn -mcpu=gfx1310 -show-encoding %s | %extract-encodings | llvm-mc -triple=amdgcn -mcpu=gfx1310 -disassemble -show-encoding | FileCheck -check-prefixes=GFX13,GFX13-DIS %s

s_cmp_eq_i32 s0, s0
// GFX13: s_cmp_eq_i32 s0, s0                     ; encoding: [0x00,0x00,0x00,0xbf]

s_cmp_eq_i32 s105, s0
// GFX13: s_cmp_eq_i32 s105, s0                   ; encoding: [0x69,0x00,0x00,0xbf]

s_cmp_eq_i32 vcc_lo, s0
// GFX13: s_cmp_eq_i32 vcc_lo, s0                 ; encoding: [0x6a,0x00,0x00,0xbf]

s_cmp_eq_i32 exec_lo, s0
// GFX13: s_cmp_eq_i32 exec_lo, s0                ; encoding: [0x7e,0x00,0x00,0xbf]

s_cmp_eq_i32 m0, s0
// GFX13: s_cmp_eq_i32 m0, s0                     ; encoding: [0x7d,0x00,0x00,0xbf]

s_cmp_eq_i32 null, s0
// GFX13: s_cmp_eq_i32 null, s0                   ; encoding: [0x7c,0x00,0x00,0xbf]

s_cmp_eq_i32 0, s0
// GFX13: s_cmp_eq_i32 0, s0                      ; encoding: [0x80,0x00,0x00,0xbf]

s_cmp_eq_i32 0.5, s0
// GFX13: s_cmp_eq_i32 0.5, s0                    ; encoding: [0xf0,0x00,0x00,0xbf]

s_cmp_eq_i32 0x12345678, s0
// GFX13: s_cmp_eq_i32 0x12345678, s0             ; encoding: [0xff,0x00,0x00,0xbf,0x78,0x56,0x34,0x12]

s_cmp_eq_i32 s0, s105
// GFX13: s_cmp_eq_i32 s0, s105                   ; encoding: [0x00,0x69,0x00,0xbf]

s_cmp_eq_i32 s0, vcc_lo
// GFX13: s_cmp_eq_i32 s0, vcc_lo                 ; encoding: [0x00,0x6a,0x00,0xbf]

s_cmp_eq_i32 s0, exec_lo
// GFX13: s_cmp_eq_i32 s0, exec_lo                ; encoding: [0x00,0x7e,0x00,0xbf]

s_cmp_eq_i32 s0, m0
// GFX13: s_cmp_eq_i32 s0, m0                     ; encoding: [0x00,0x7d,0x00,0xbf]

s_cmp_eq_i32 s0, null
// GFX13: s_cmp_eq_i32 s0, null                   ; encoding: [0x00,0x7c,0x00,0xbf]

s_cmp_eq_i32 s0, 0
// GFX13: s_cmp_eq_i32 s0, 0                      ; encoding: [0x00,0x80,0x00,0xbf]

s_cmp_eq_i32 s0, 0.5
// GFX13: s_cmp_eq_i32 s0, 0.5                    ; encoding: [0x00,0xf0,0x00,0xbf]

s_cmp_eq_i32 s0, 0x12345678
// GFX13: s_cmp_eq_i32 s0, 0x12345678             ; encoding: [0x00,0xff,0x00,0xbf,0x78,0x56,0x34,0x12]

s_cmp_lg_i32 s0, s0
// GFX13: s_cmp_lg_i32 s0, s0                     ; encoding: [0x00,0x00,0x01,0xbf]

s_cmp_lg_i32 s105, s0
// GFX13: s_cmp_lg_i32 s105, s0                   ; encoding: [0x69,0x00,0x01,0xbf]

s_cmp_lg_i32 vcc_lo, s0
// GFX13: s_cmp_lg_i32 vcc_lo, s0                 ; encoding: [0x6a,0x00,0x01,0xbf]

s_cmp_lg_i32 exec_lo, s0
// GFX13: s_cmp_lg_i32 exec_lo, s0                ; encoding: [0x7e,0x00,0x01,0xbf]

s_cmp_lg_i32 m0, s0
// GFX13: s_cmp_lg_i32 m0, s0                     ; encoding: [0x7d,0x00,0x01,0xbf]

s_cmp_lg_i32 null, s0
// GFX13: s_cmp_lg_i32 null, s0                   ; encoding: [0x7c,0x00,0x01,0xbf]

s_cmp_lg_i32 0, s0
// GFX13: s_cmp_lg_i32 0, s0                      ; encoding: [0x80,0x00,0x01,0xbf]

s_cmp_lg_i32 0.5, s0
// GFX13: s_cmp_lg_i32 0.5, s0                    ; encoding: [0xf0,0x00,0x01,0xbf]

s_cmp_lg_i32 0x12345678, s0
// GFX13: s_cmp_lg_i32 0x12345678, s0             ; encoding: [0xff,0x00,0x01,0xbf,0x78,0x56,0x34,0x12]

s_cmp_lg_i32 s0, s105
// GFX13: s_cmp_lg_i32 s0, s105                   ; encoding: [0x00,0x69,0x01,0xbf]

s_cmp_lg_i32 s0, vcc_lo
// GFX13: s_cmp_lg_i32 s0, vcc_lo                 ; encoding: [0x00,0x6a,0x01,0xbf]

s_cmp_lg_i32 s0, exec_lo
// GFX13: s_cmp_lg_i32 s0, exec_lo                ; encoding: [0x00,0x7e,0x01,0xbf]

s_cmp_lg_i32 s0, m0
// GFX13: s_cmp_lg_i32 s0, m0                     ; encoding: [0x00,0x7d,0x01,0xbf]

s_cmp_lg_i32 s0, null
// GFX13: s_cmp_lg_i32 s0, null                   ; encoding: [0x00,0x7c,0x01,0xbf]

s_cmp_lg_i32 s0, 0
// GFX13: s_cmp_lg_i32 s0, 0                      ; encoding: [0x00,0x80,0x01,0xbf]

s_cmp_lg_i32 s0, 0.5
// GFX13: s_cmp_lg_i32 s0, 0.5                    ; encoding: [0x00,0xf0,0x01,0xbf]

s_cmp_lg_i32 s0, 0x12345678
// GFX13: s_cmp_lg_i32 s0, 0x12345678             ; encoding: [0x00,0xff,0x01,0xbf,0x78,0x56,0x34,0x12]

s_cmp_gt_i32 s0, s0
// GFX13: s_cmp_gt_i32 s0, s0                     ; encoding: [0x00,0x00,0x02,0xbf]

s_cmp_gt_i32 s105, s0
// GFX13: s_cmp_gt_i32 s105, s0                   ; encoding: [0x69,0x00,0x02,0xbf]

s_cmp_gt_i32 vcc_lo, s0
// GFX13: s_cmp_gt_i32 vcc_lo, s0                 ; encoding: [0x6a,0x00,0x02,0xbf]

s_cmp_gt_i32 exec_lo, s0
// GFX13: s_cmp_gt_i32 exec_lo, s0                ; encoding: [0x7e,0x00,0x02,0xbf]

s_cmp_gt_i32 m0, s0
// GFX13: s_cmp_gt_i32 m0, s0                     ; encoding: [0x7d,0x00,0x02,0xbf]

s_cmp_gt_i32 null, s0
// GFX13: s_cmp_gt_i32 null, s0                   ; encoding: [0x7c,0x00,0x02,0xbf]

s_cmp_gt_i32 0, s0
// GFX13: s_cmp_gt_i32 0, s0                      ; encoding: [0x80,0x00,0x02,0xbf]

s_cmp_gt_i32 0.5, s0
// GFX13: s_cmp_gt_i32 0.5, s0                    ; encoding: [0xf0,0x00,0x02,0xbf]

s_cmp_gt_i32 0x12345678, s0
// GFX13: s_cmp_gt_i32 0x12345678, s0             ; encoding: [0xff,0x00,0x02,0xbf,0x78,0x56,0x34,0x12]

s_cmp_gt_i32 s0, s105
// GFX13: s_cmp_gt_i32 s0, s105                   ; encoding: [0x00,0x69,0x02,0xbf]

s_cmp_gt_i32 s0, vcc_lo
// GFX13: s_cmp_gt_i32 s0, vcc_lo                 ; encoding: [0x00,0x6a,0x02,0xbf]

s_cmp_gt_i32 s0, exec_lo
// GFX13: s_cmp_gt_i32 s0, exec_lo                ; encoding: [0x00,0x7e,0x02,0xbf]

s_cmp_gt_i32 s0, m0
// GFX13: s_cmp_gt_i32 s0, m0                     ; encoding: [0x00,0x7d,0x02,0xbf]

s_cmp_gt_i32 s0, null
// GFX13: s_cmp_gt_i32 s0, null                   ; encoding: [0x00,0x7c,0x02,0xbf]

s_cmp_gt_i32 s0, 0
// GFX13: s_cmp_gt_i32 s0, 0                      ; encoding: [0x00,0x80,0x02,0xbf]

s_cmp_gt_i32 s0, 0.5
// GFX13: s_cmp_gt_i32 s0, 0.5                    ; encoding: [0x00,0xf0,0x02,0xbf]

s_cmp_gt_i32 s0, 0x12345678
// GFX13: s_cmp_gt_i32 s0, 0x12345678             ; encoding: [0x00,0xff,0x02,0xbf,0x78,0x56,0x34,0x12]

s_cmp_ge_i32 s0, s0
// GFX13: s_cmp_ge_i32 s0, s0                     ; encoding: [0x00,0x00,0x03,0xbf]

s_cmp_ge_i32 s105, s0
// GFX13: s_cmp_ge_i32 s105, s0                   ; encoding: [0x69,0x00,0x03,0xbf]

s_cmp_ge_i32 vcc_lo, s0
// GFX13: s_cmp_ge_i32 vcc_lo, s0                 ; encoding: [0x6a,0x00,0x03,0xbf]

s_cmp_ge_i32 exec_lo, s0
// GFX13: s_cmp_ge_i32 exec_lo, s0                ; encoding: [0x7e,0x00,0x03,0xbf]

s_cmp_ge_i32 m0, s0
// GFX13: s_cmp_ge_i32 m0, s0                     ; encoding: [0x7d,0x00,0x03,0xbf]

s_cmp_ge_i32 null, s0
// GFX13: s_cmp_ge_i32 null, s0                   ; encoding: [0x7c,0x00,0x03,0xbf]

s_cmp_ge_i32 0, s0
// GFX13: s_cmp_ge_i32 0, s0                      ; encoding: [0x80,0x00,0x03,0xbf]

s_cmp_ge_i32 0.5, s0
// GFX13: s_cmp_ge_i32 0.5, s0                    ; encoding: [0xf0,0x00,0x03,0xbf]

s_cmp_ge_i32 0x12345678, s0
// GFX13: s_cmp_ge_i32 0x12345678, s0             ; encoding: [0xff,0x00,0x03,0xbf,0x78,0x56,0x34,0x12]

s_cmp_ge_i32 s0, s105
// GFX13: s_cmp_ge_i32 s0, s105                   ; encoding: [0x00,0x69,0x03,0xbf]

s_cmp_ge_i32 s0, vcc_lo
// GFX13: s_cmp_ge_i32 s0, vcc_lo                 ; encoding: [0x00,0x6a,0x03,0xbf]

s_cmp_ge_i32 s0, exec_lo
// GFX13: s_cmp_ge_i32 s0, exec_lo                ; encoding: [0x00,0x7e,0x03,0xbf]

s_cmp_ge_i32 s0, m0
// GFX13: s_cmp_ge_i32 s0, m0                     ; encoding: [0x00,0x7d,0x03,0xbf]

s_cmp_ge_i32 s0, null
// GFX13: s_cmp_ge_i32 s0, null                   ; encoding: [0x00,0x7c,0x03,0xbf]

s_cmp_ge_i32 s0, 0
// GFX13: s_cmp_ge_i32 s0, 0                      ; encoding: [0x00,0x80,0x03,0xbf]

s_cmp_ge_i32 s0, 0.5
// GFX13: s_cmp_ge_i32 s0, 0.5                    ; encoding: [0x00,0xf0,0x03,0xbf]

s_cmp_ge_i32 s0, 0x12345678
// GFX13: s_cmp_ge_i32 s0, 0x12345678             ; encoding: [0x00,0xff,0x03,0xbf,0x78,0x56,0x34,0x12]

s_cmp_lt_i32 s0, s0
// GFX13: s_cmp_lt_i32 s0, s0                     ; encoding: [0x00,0x00,0x04,0xbf]

s_cmp_lt_i32 s105, s0
// GFX13: s_cmp_lt_i32 s105, s0                   ; encoding: [0x69,0x00,0x04,0xbf]

s_cmp_lt_i32 vcc_lo, s0
// GFX13: s_cmp_lt_i32 vcc_lo, s0                 ; encoding: [0x6a,0x00,0x04,0xbf]

s_cmp_lt_i32 exec_lo, s0
// GFX13: s_cmp_lt_i32 exec_lo, s0                ; encoding: [0x7e,0x00,0x04,0xbf]

s_cmp_lt_i32 m0, s0
// GFX13: s_cmp_lt_i32 m0, s0                     ; encoding: [0x7d,0x00,0x04,0xbf]

s_cmp_lt_i32 null, s0
// GFX13: s_cmp_lt_i32 null, s0                   ; encoding: [0x7c,0x00,0x04,0xbf]

s_cmp_lt_i32 0, s0
// GFX13: s_cmp_lt_i32 0, s0                      ; encoding: [0x80,0x00,0x04,0xbf]

s_cmp_lt_i32 0.5, s0
// GFX13: s_cmp_lt_i32 0.5, s0                    ; encoding: [0xf0,0x00,0x04,0xbf]

s_cmp_lt_i32 0x12345678, s0
// GFX13: s_cmp_lt_i32 0x12345678, s0             ; encoding: [0xff,0x00,0x04,0xbf,0x78,0x56,0x34,0x12]

s_cmp_lt_i32 s0, s105
// GFX13: s_cmp_lt_i32 s0, s105                   ; encoding: [0x00,0x69,0x04,0xbf]

s_cmp_lt_i32 s0, vcc_lo
// GFX13: s_cmp_lt_i32 s0, vcc_lo                 ; encoding: [0x00,0x6a,0x04,0xbf]

s_cmp_lt_i32 s0, exec_lo
// GFX13: s_cmp_lt_i32 s0, exec_lo                ; encoding: [0x00,0x7e,0x04,0xbf]

s_cmp_lt_i32 s0, m0
// GFX13: s_cmp_lt_i32 s0, m0                     ; encoding: [0x00,0x7d,0x04,0xbf]

s_cmp_lt_i32 s0, null
// GFX13: s_cmp_lt_i32 s0, null                   ; encoding: [0x00,0x7c,0x04,0xbf]

s_cmp_lt_i32 s0, 0
// GFX13: s_cmp_lt_i32 s0, 0                      ; encoding: [0x00,0x80,0x04,0xbf]

s_cmp_lt_i32 s0, 0.5
// GFX13: s_cmp_lt_i32 s0, 0.5                    ; encoding: [0x00,0xf0,0x04,0xbf]

s_cmp_lt_i32 s0, 0x12345678
// GFX13: s_cmp_lt_i32 s0, 0x12345678             ; encoding: [0x00,0xff,0x04,0xbf,0x78,0x56,0x34,0x12]

s_cmp_le_i32 s0, s0
// GFX13: s_cmp_le_i32 s0, s0                     ; encoding: [0x00,0x00,0x05,0xbf]

s_cmp_le_i32 s105, s0
// GFX13: s_cmp_le_i32 s105, s0                   ; encoding: [0x69,0x00,0x05,0xbf]

s_cmp_le_i32 vcc_lo, s0
// GFX13: s_cmp_le_i32 vcc_lo, s0                 ; encoding: [0x6a,0x00,0x05,0xbf]

s_cmp_le_i32 exec_lo, s0
// GFX13: s_cmp_le_i32 exec_lo, s0                ; encoding: [0x7e,0x00,0x05,0xbf]

s_cmp_le_i32 m0, s0
// GFX13: s_cmp_le_i32 m0, s0                     ; encoding: [0x7d,0x00,0x05,0xbf]

s_cmp_le_i32 null, s0
// GFX13: s_cmp_le_i32 null, s0                   ; encoding: [0x7c,0x00,0x05,0xbf]

s_cmp_le_i32 0, s0
// GFX13: s_cmp_le_i32 0, s0                      ; encoding: [0x80,0x00,0x05,0xbf]

s_cmp_le_i32 0.5, s0
// GFX13: s_cmp_le_i32 0.5, s0                    ; encoding: [0xf0,0x00,0x05,0xbf]

s_cmp_le_i32 0x12345678, s0
// GFX13: s_cmp_le_i32 0x12345678, s0             ; encoding: [0xff,0x00,0x05,0xbf,0x78,0x56,0x34,0x12]

s_cmp_le_i32 s0, s105
// GFX13: s_cmp_le_i32 s0, s105                   ; encoding: [0x00,0x69,0x05,0xbf]

s_cmp_le_i32 s0, vcc_lo
// GFX13: s_cmp_le_i32 s0, vcc_lo                 ; encoding: [0x00,0x6a,0x05,0xbf]

s_cmp_le_i32 s0, exec_lo
// GFX13: s_cmp_le_i32 s0, exec_lo                ; encoding: [0x00,0x7e,0x05,0xbf]

s_cmp_le_i32 s0, m0
// GFX13: s_cmp_le_i32 s0, m0                     ; encoding: [0x00,0x7d,0x05,0xbf]

s_cmp_le_i32 s0, null
// GFX13: s_cmp_le_i32 s0, null                   ; encoding: [0x00,0x7c,0x05,0xbf]

s_cmp_le_i32 s0, 0
// GFX13: s_cmp_le_i32 s0, 0                      ; encoding: [0x00,0x80,0x05,0xbf]

s_cmp_le_i32 s0, 0.5
// GFX13: s_cmp_le_i32 s0, 0.5                    ; encoding: [0x00,0xf0,0x05,0xbf]

s_cmp_le_i32 s0, 0x12345678
// GFX13: s_cmp_le_i32 s0, 0x12345678             ; encoding: [0x00,0xff,0x05,0xbf,0x78,0x56,0x34,0x12]

s_cmp_eq_u32 s0, s0
// GFX13: s_cmp_eq_u32 s0, s0                     ; encoding: [0x00,0x00,0x06,0xbf]

s_cmp_eq_u32 s105, s0
// GFX13: s_cmp_eq_u32 s105, s0                   ; encoding: [0x69,0x00,0x06,0xbf]

s_cmp_eq_u32 vcc_lo, s0
// GFX13: s_cmp_eq_u32 vcc_lo, s0                 ; encoding: [0x6a,0x00,0x06,0xbf]

s_cmp_eq_u32 exec_lo, s0
// GFX13: s_cmp_eq_u32 exec_lo, s0                ; encoding: [0x7e,0x00,0x06,0xbf]

s_cmp_eq_u32 m0, s0
// GFX13: s_cmp_eq_u32 m0, s0                     ; encoding: [0x7d,0x00,0x06,0xbf]

s_cmp_eq_u32 null, s0
// GFX13: s_cmp_eq_u32 null, s0                   ; encoding: [0x7c,0x00,0x06,0xbf]

s_cmp_eq_u32 0, s0
// GFX13: s_cmp_eq_u32 0, s0                      ; encoding: [0x80,0x00,0x06,0xbf]

s_cmp_eq_u32 0.5, s0
// GFX13: s_cmp_eq_u32 0.5, s0                    ; encoding: [0xf0,0x00,0x06,0xbf]

s_cmp_eq_u32 0x12345678, s0
// GFX13: s_cmp_eq_u32 0x12345678, s0             ; encoding: [0xff,0x00,0x06,0xbf,0x78,0x56,0x34,0x12]

s_cmp_eq_u32 s0, s105
// GFX13: s_cmp_eq_u32 s0, s105                   ; encoding: [0x00,0x69,0x06,0xbf]

s_cmp_eq_u32 s0, vcc_lo
// GFX13: s_cmp_eq_u32 s0, vcc_lo                 ; encoding: [0x00,0x6a,0x06,0xbf]

s_cmp_eq_u32 s0, exec_lo
// GFX13: s_cmp_eq_u32 s0, exec_lo                ; encoding: [0x00,0x7e,0x06,0xbf]

s_cmp_eq_u32 s0, m0
// GFX13: s_cmp_eq_u32 s0, m0                     ; encoding: [0x00,0x7d,0x06,0xbf]

s_cmp_eq_u32 s0, null
// GFX13: s_cmp_eq_u32 s0, null                   ; encoding: [0x00,0x7c,0x06,0xbf]

s_cmp_eq_u32 s0, 0
// GFX13: s_cmp_eq_u32 s0, 0                      ; encoding: [0x00,0x80,0x06,0xbf]

s_cmp_eq_u32 s0, 0.5
// GFX13: s_cmp_eq_u32 s0, 0.5                    ; encoding: [0x00,0xf0,0x06,0xbf]

s_cmp_eq_u32 s0, 0x12345678
// GFX13: s_cmp_eq_u32 s0, 0x12345678             ; encoding: [0x00,0xff,0x06,0xbf,0x78,0x56,0x34,0x12]

s_cmp_lg_u32 s0, s0
// GFX13: s_cmp_lg_u32 s0, s0                     ; encoding: [0x00,0x00,0x07,0xbf]

s_cmp_lg_u32 s105, s0
// GFX13: s_cmp_lg_u32 s105, s0                   ; encoding: [0x69,0x00,0x07,0xbf]

s_cmp_lg_u32 vcc_lo, s0
// GFX13: s_cmp_lg_u32 vcc_lo, s0                 ; encoding: [0x6a,0x00,0x07,0xbf]

s_cmp_lg_u32 exec_lo, s0
// GFX13: s_cmp_lg_u32 exec_lo, s0                ; encoding: [0x7e,0x00,0x07,0xbf]

s_cmp_lg_u32 m0, s0
// GFX13: s_cmp_lg_u32 m0, s0                     ; encoding: [0x7d,0x00,0x07,0xbf]

s_cmp_lg_u32 null, s0
// GFX13: s_cmp_lg_u32 null, s0                   ; encoding: [0x7c,0x00,0x07,0xbf]

s_cmp_lg_u32 0, s0
// GFX13: s_cmp_lg_u32 0, s0                      ; encoding: [0x80,0x00,0x07,0xbf]

s_cmp_lg_u32 0.5, s0
// GFX13: s_cmp_lg_u32 0.5, s0                    ; encoding: [0xf0,0x00,0x07,0xbf]

s_cmp_lg_u32 0x12345678, s0
// GFX13: s_cmp_lg_u32 0x12345678, s0             ; encoding: [0xff,0x00,0x07,0xbf,0x78,0x56,0x34,0x12]

s_cmp_lg_u32 s0, s105
// GFX13: s_cmp_lg_u32 s0, s105                   ; encoding: [0x00,0x69,0x07,0xbf]

s_cmp_lg_u32 s0, vcc_lo
// GFX13: s_cmp_lg_u32 s0, vcc_lo                 ; encoding: [0x00,0x6a,0x07,0xbf]

s_cmp_lg_u32 s0, exec_lo
// GFX13: s_cmp_lg_u32 s0, exec_lo                ; encoding: [0x00,0x7e,0x07,0xbf]

s_cmp_lg_u32 s0, m0
// GFX13: s_cmp_lg_u32 s0, m0                     ; encoding: [0x00,0x7d,0x07,0xbf]

s_cmp_lg_u32 s0, null
// GFX13: s_cmp_lg_u32 s0, null                   ; encoding: [0x00,0x7c,0x07,0xbf]

s_cmp_lg_u32 s0, 0
// GFX13: s_cmp_lg_u32 s0, 0                      ; encoding: [0x00,0x80,0x07,0xbf]

s_cmp_lg_u32 s0, 0.5
// GFX13: s_cmp_lg_u32 s0, 0.5                    ; encoding: [0x00,0xf0,0x07,0xbf]

s_cmp_lg_u32 s0, 0x12345678
// GFX13: s_cmp_lg_u32 s0, 0x12345678             ; encoding: [0x00,0xff,0x07,0xbf,0x78,0x56,0x34,0x12]

s_cmp_gt_u32 s0, s0
// GFX13: s_cmp_gt_u32 s0, s0                     ; encoding: [0x00,0x00,0x08,0xbf]

s_cmp_gt_u32 s105, s0
// GFX13: s_cmp_gt_u32 s105, s0                   ; encoding: [0x69,0x00,0x08,0xbf]

s_cmp_gt_u32 vcc_lo, s0
// GFX13: s_cmp_gt_u32 vcc_lo, s0                 ; encoding: [0x6a,0x00,0x08,0xbf]

s_cmp_gt_u32 exec_lo, s0
// GFX13: s_cmp_gt_u32 exec_lo, s0                ; encoding: [0x7e,0x00,0x08,0xbf]

s_cmp_gt_u32 m0, s0
// GFX13: s_cmp_gt_u32 m0, s0                     ; encoding: [0x7d,0x00,0x08,0xbf]

s_cmp_gt_u32 null, s0
// GFX13: s_cmp_gt_u32 null, s0                   ; encoding: [0x7c,0x00,0x08,0xbf]

s_cmp_gt_u32 0, s0
// GFX13: s_cmp_gt_u32 0, s0                      ; encoding: [0x80,0x00,0x08,0xbf]

s_cmp_gt_u32 0.5, s0
// GFX13: s_cmp_gt_u32 0.5, s0                    ; encoding: [0xf0,0x00,0x08,0xbf]

s_cmp_gt_u32 0x12345678, s0
// GFX13: s_cmp_gt_u32 0x12345678, s0             ; encoding: [0xff,0x00,0x08,0xbf,0x78,0x56,0x34,0x12]

s_cmp_gt_u32 s0, s105
// GFX13: s_cmp_gt_u32 s0, s105                   ; encoding: [0x00,0x69,0x08,0xbf]

s_cmp_gt_u32 s0, vcc_lo
// GFX13: s_cmp_gt_u32 s0, vcc_lo                 ; encoding: [0x00,0x6a,0x08,0xbf]

s_cmp_gt_u32 s0, exec_lo
// GFX13: s_cmp_gt_u32 s0, exec_lo                ; encoding: [0x00,0x7e,0x08,0xbf]

s_cmp_gt_u32 s0, m0
// GFX13: s_cmp_gt_u32 s0, m0                     ; encoding: [0x00,0x7d,0x08,0xbf]

s_cmp_gt_u32 s0, null
// GFX13: s_cmp_gt_u32 s0, null                   ; encoding: [0x00,0x7c,0x08,0xbf]

s_cmp_gt_u32 s0, 0
// GFX13: s_cmp_gt_u32 s0, 0                      ; encoding: [0x00,0x80,0x08,0xbf]

s_cmp_gt_u32 s0, 0.5
// GFX13: s_cmp_gt_u32 s0, 0.5                    ; encoding: [0x00,0xf0,0x08,0xbf]

s_cmp_gt_u32 s0, 0x12345678
// GFX13: s_cmp_gt_u32 s0, 0x12345678             ; encoding: [0x00,0xff,0x08,0xbf,0x78,0x56,0x34,0x12]

s_cmp_ge_u32 s0, s0
// GFX13: s_cmp_ge_u32 s0, s0                     ; encoding: [0x00,0x00,0x09,0xbf]

s_cmp_ge_u32 s105, s0
// GFX13: s_cmp_ge_u32 s105, s0                   ; encoding: [0x69,0x00,0x09,0xbf]

s_cmp_ge_u32 vcc_lo, s0
// GFX13: s_cmp_ge_u32 vcc_lo, s0                 ; encoding: [0x6a,0x00,0x09,0xbf]

s_cmp_ge_u32 exec_lo, s0
// GFX13: s_cmp_ge_u32 exec_lo, s0                ; encoding: [0x7e,0x00,0x09,0xbf]

s_cmp_ge_u32 m0, s0
// GFX13: s_cmp_ge_u32 m0, s0                     ; encoding: [0x7d,0x00,0x09,0xbf]

s_cmp_ge_u32 null, s0
// GFX13: s_cmp_ge_u32 null, s0                   ; encoding: [0x7c,0x00,0x09,0xbf]

s_cmp_ge_u32 0, s0
// GFX13: s_cmp_ge_u32 0, s0                      ; encoding: [0x80,0x00,0x09,0xbf]

s_cmp_ge_u32 0.5, s0
// GFX13: s_cmp_ge_u32 0.5, s0                    ; encoding: [0xf0,0x00,0x09,0xbf]

s_cmp_ge_u32 0x12345678, s0
// GFX13: s_cmp_ge_u32 0x12345678, s0             ; encoding: [0xff,0x00,0x09,0xbf,0x78,0x56,0x34,0x12]

s_cmp_ge_u32 s0, s105
// GFX13: s_cmp_ge_u32 s0, s105                   ; encoding: [0x00,0x69,0x09,0xbf]

s_cmp_ge_u32 s0, vcc_lo
// GFX13: s_cmp_ge_u32 s0, vcc_lo                 ; encoding: [0x00,0x6a,0x09,0xbf]

s_cmp_ge_u32 s0, exec_lo
// GFX13: s_cmp_ge_u32 s0, exec_lo                ; encoding: [0x00,0x7e,0x09,0xbf]

s_cmp_ge_u32 s0, m0
// GFX13: s_cmp_ge_u32 s0, m0                     ; encoding: [0x00,0x7d,0x09,0xbf]

s_cmp_ge_u32 s0, null
// GFX13: s_cmp_ge_u32 s0, null                   ; encoding: [0x00,0x7c,0x09,0xbf]

s_cmp_ge_u32 s0, 0
// GFX13: s_cmp_ge_u32 s0, 0                      ; encoding: [0x00,0x80,0x09,0xbf]

s_cmp_ge_u32 s0, 0.5
// GFX13: s_cmp_ge_u32 s0, 0.5                    ; encoding: [0x00,0xf0,0x09,0xbf]

s_cmp_ge_u32 s0, 0x12345678
// GFX13: s_cmp_ge_u32 s0, 0x12345678             ; encoding: [0x00,0xff,0x09,0xbf,0x78,0x56,0x34,0x12]

s_cmp_lt_u32 s0, s0
// GFX13: s_cmp_lt_u32 s0, s0                     ; encoding: [0x00,0x00,0x0a,0xbf]

s_cmp_lt_u32 s105, s0
// GFX13: s_cmp_lt_u32 s105, s0                   ; encoding: [0x69,0x00,0x0a,0xbf]

s_cmp_lt_u32 vcc_lo, s0
// GFX13: s_cmp_lt_u32 vcc_lo, s0                 ; encoding: [0x6a,0x00,0x0a,0xbf]

s_cmp_lt_u32 exec_lo, s0
// GFX13: s_cmp_lt_u32 exec_lo, s0                ; encoding: [0x7e,0x00,0x0a,0xbf]

s_cmp_lt_u32 m0, s0
// GFX13: s_cmp_lt_u32 m0, s0                     ; encoding: [0x7d,0x00,0x0a,0xbf]

s_cmp_lt_u32 null, s0
// GFX13: s_cmp_lt_u32 null, s0                   ; encoding: [0x7c,0x00,0x0a,0xbf]

s_cmp_lt_u32 0, s0
// GFX13: s_cmp_lt_u32 0, s0                      ; encoding: [0x80,0x00,0x0a,0xbf]

s_cmp_lt_u32 0.5, s0
// GFX13: s_cmp_lt_u32 0.5, s0                    ; encoding: [0xf0,0x00,0x0a,0xbf]

s_cmp_lt_u32 0x12345678, s0
// GFX13: s_cmp_lt_u32 0x12345678, s0             ; encoding: [0xff,0x00,0x0a,0xbf,0x78,0x56,0x34,0x12]

s_cmp_lt_u32 s0, s105
// GFX13: s_cmp_lt_u32 s0, s105                   ; encoding: [0x00,0x69,0x0a,0xbf]

s_cmp_lt_u32 s0, vcc_lo
// GFX13: s_cmp_lt_u32 s0, vcc_lo                 ; encoding: [0x00,0x6a,0x0a,0xbf]

s_cmp_lt_u32 s0, exec_lo
// GFX13: s_cmp_lt_u32 s0, exec_lo                ; encoding: [0x00,0x7e,0x0a,0xbf]

s_cmp_lt_u32 s0, m0
// GFX13: s_cmp_lt_u32 s0, m0                     ; encoding: [0x00,0x7d,0x0a,0xbf]

s_cmp_lt_u32 s0, null
// GFX13: s_cmp_lt_u32 s0, null                   ; encoding: [0x00,0x7c,0x0a,0xbf]

s_cmp_lt_u32 s0, 0
// GFX13: s_cmp_lt_u32 s0, 0                      ; encoding: [0x00,0x80,0x0a,0xbf]

s_cmp_lt_u32 s0, 0.5
// GFX13: s_cmp_lt_u32 s0, 0.5                    ; encoding: [0x00,0xf0,0x0a,0xbf]

s_cmp_lt_u32 s0, 0x12345678
// GFX13: s_cmp_lt_u32 s0, 0x12345678             ; encoding: [0x00,0xff,0x0a,0xbf,0x78,0x56,0x34,0x12]

s_cmp_le_u32 s0, s0
// GFX13: s_cmp_le_u32 s0, s0                     ; encoding: [0x00,0x00,0x0b,0xbf]

s_cmp_le_u32 s105, s0
// GFX13: s_cmp_le_u32 s105, s0                   ; encoding: [0x69,0x00,0x0b,0xbf]

s_cmp_le_u32 vcc_lo, s0
// GFX13: s_cmp_le_u32 vcc_lo, s0                 ; encoding: [0x6a,0x00,0x0b,0xbf]

s_cmp_le_u32 exec_lo, s0
// GFX13: s_cmp_le_u32 exec_lo, s0                ; encoding: [0x7e,0x00,0x0b,0xbf]

s_cmp_le_u32 m0, s0
// GFX13: s_cmp_le_u32 m0, s0                     ; encoding: [0x7d,0x00,0x0b,0xbf]

s_cmp_le_u32 null, s0
// GFX13: s_cmp_le_u32 null, s0                   ; encoding: [0x7c,0x00,0x0b,0xbf]

s_cmp_le_u32 0, s0
// GFX13: s_cmp_le_u32 0, s0                      ; encoding: [0x80,0x00,0x0b,0xbf]

s_cmp_le_u32 0.5, s0
// GFX13: s_cmp_le_u32 0.5, s0                    ; encoding: [0xf0,0x00,0x0b,0xbf]

s_cmp_le_u32 0x12345678, s0
// GFX13: s_cmp_le_u32 0x12345678, s0             ; encoding: [0xff,0x00,0x0b,0xbf,0x78,0x56,0x34,0x12]

s_cmp_le_u32 s0, s105
// GFX13: s_cmp_le_u32 s0, s105                   ; encoding: [0x00,0x69,0x0b,0xbf]

s_cmp_le_u32 s0, vcc_lo
// GFX13: s_cmp_le_u32 s0, vcc_lo                 ; encoding: [0x00,0x6a,0x0b,0xbf]

s_cmp_le_u32 s0, exec_lo
// GFX13: s_cmp_le_u32 s0, exec_lo                ; encoding: [0x00,0x7e,0x0b,0xbf]

s_cmp_le_u32 s0, m0
// GFX13: s_cmp_le_u32 s0, m0                     ; encoding: [0x00,0x7d,0x0b,0xbf]

s_cmp_le_u32 s0, null
// GFX13: s_cmp_le_u32 s0, null                   ; encoding: [0x00,0x7c,0x0b,0xbf]

s_cmp_le_u32 s0, 0
// GFX13: s_cmp_le_u32 s0, 0                      ; encoding: [0x00,0x80,0x0b,0xbf]

s_cmp_le_u32 s0, 0.5
// GFX13: s_cmp_le_u32 s0, 0.5                    ; encoding: [0x00,0xf0,0x0b,0xbf]

s_cmp_le_u32 s0, 0x12345678
// GFX13: s_cmp_le_u32 s0, 0x12345678             ; encoding: [0x00,0xff,0x0b,0xbf,0x78,0x56,0x34,0x12]

s_bitcmp0_b32 s0, s0
// GFX13: s_bitcmp0_b32 s0, s0                    ; encoding: [0x00,0x00,0x0c,0xbf]

s_bitcmp0_b32 s105, s0
// GFX13: s_bitcmp0_b32 s105, s0                  ; encoding: [0x69,0x00,0x0c,0xbf]

s_bitcmp0_b32 vcc_lo, s0
// GFX13: s_bitcmp0_b32 vcc_lo, s0                ; encoding: [0x6a,0x00,0x0c,0xbf]

s_bitcmp0_b32 exec_lo, s0
// GFX13: s_bitcmp0_b32 exec_lo, s0               ; encoding: [0x7e,0x00,0x0c,0xbf]

s_bitcmp0_b32 m0, s0
// GFX13: s_bitcmp0_b32 m0, s0                    ; encoding: [0x7d,0x00,0x0c,0xbf]

s_bitcmp0_b32 null, s0
// GFX13: s_bitcmp0_b32 null, s0                  ; encoding: [0x7c,0x00,0x0c,0xbf]

s_bitcmp0_b32 0, s0
// GFX13: s_bitcmp0_b32 0, s0                     ; encoding: [0x80,0x00,0x0c,0xbf]

s_bitcmp0_b32 0.5, s0
// GFX13: s_bitcmp0_b32 0.5, s0                   ; encoding: [0xf0,0x00,0x0c,0xbf]

s_bitcmp0_b32 0x12345678, s0
// GFX13: s_bitcmp0_b32 0x12345678, s0            ; encoding: [0xff,0x00,0x0c,0xbf,0x78,0x56,0x34,0x12]

s_bitcmp0_b32 s0, s105
// GFX13: s_bitcmp0_b32 s0, s105                  ; encoding: [0x00,0x69,0x0c,0xbf]

s_bitcmp0_b32 s0, vcc_lo
// GFX13: s_bitcmp0_b32 s0, vcc_lo                ; encoding: [0x00,0x6a,0x0c,0xbf]

s_bitcmp0_b32 s0, exec_lo
// GFX13: s_bitcmp0_b32 s0, exec_lo               ; encoding: [0x00,0x7e,0x0c,0xbf]

s_bitcmp0_b32 s0, m0
// GFX13: s_bitcmp0_b32 s0, m0                    ; encoding: [0x00,0x7d,0x0c,0xbf]

s_bitcmp0_b32 s0, null
// GFX13: s_bitcmp0_b32 s0, null                  ; encoding: [0x00,0x7c,0x0c,0xbf]

s_bitcmp0_b32 s0, 0
// GFX13: s_bitcmp0_b32 s0, 0                     ; encoding: [0x00,0x80,0x0c,0xbf]

s_bitcmp0_b32 s0, 0.5
// GFX13: s_bitcmp0_b32 s0, 0.5                   ; encoding: [0x00,0xf0,0x0c,0xbf]

s_bitcmp0_b32 s0, 0x12345678
// GFX13: s_bitcmp0_b32 s0, 0x12345678            ; encoding: [0x00,0xff,0x0c,0xbf,0x78,0x56,0x34,0x12]

s_bitcmp1_b32 s0, s0
// GFX13: s_bitcmp1_b32 s0, s0                    ; encoding: [0x00,0x00,0x0d,0xbf]

s_bitcmp1_b32 s105, s0
// GFX13: s_bitcmp1_b32 s105, s0                  ; encoding: [0x69,0x00,0x0d,0xbf]

s_bitcmp1_b32 vcc_lo, s0
// GFX13: s_bitcmp1_b32 vcc_lo, s0                ; encoding: [0x6a,0x00,0x0d,0xbf]

s_bitcmp1_b32 exec_lo, s0
// GFX13: s_bitcmp1_b32 exec_lo, s0               ; encoding: [0x7e,0x00,0x0d,0xbf]

s_bitcmp1_b32 m0, s0
// GFX13: s_bitcmp1_b32 m0, s0                    ; encoding: [0x7d,0x00,0x0d,0xbf]

s_bitcmp1_b32 null, s0
// GFX13: s_bitcmp1_b32 null, s0                  ; encoding: [0x7c,0x00,0x0d,0xbf]

s_bitcmp1_b32 0, s0
// GFX13: s_bitcmp1_b32 0, s0                     ; encoding: [0x80,0x00,0x0d,0xbf]

s_bitcmp1_b32 0.5, s0
// GFX13: s_bitcmp1_b32 0.5, s0                   ; encoding: [0xf0,0x00,0x0d,0xbf]

s_bitcmp1_b32 0x12345678, s0
// GFX13: s_bitcmp1_b32 0x12345678, s0            ; encoding: [0xff,0x00,0x0d,0xbf,0x78,0x56,0x34,0x12]

s_bitcmp1_b32 s0, s105
// GFX13: s_bitcmp1_b32 s0, s105                  ; encoding: [0x00,0x69,0x0d,0xbf]

s_bitcmp1_b32 s0, vcc_lo
// GFX13: s_bitcmp1_b32 s0, vcc_lo                ; encoding: [0x00,0x6a,0x0d,0xbf]

s_bitcmp1_b32 s0, exec_lo
// GFX13: s_bitcmp1_b32 s0, exec_lo               ; encoding: [0x00,0x7e,0x0d,0xbf]

s_bitcmp1_b32 s0, m0
// GFX13: s_bitcmp1_b32 s0, m0                    ; encoding: [0x00,0x7d,0x0d,0xbf]

s_bitcmp1_b32 s0, null
// GFX13: s_bitcmp1_b32 s0, null                  ; encoding: [0x00,0x7c,0x0d,0xbf]

s_bitcmp1_b32 s0, 0
// GFX13: s_bitcmp1_b32 s0, 0                     ; encoding: [0x00,0x80,0x0d,0xbf]

s_bitcmp1_b32 s0, 0.5
// GFX13: s_bitcmp1_b32 s0, 0.5                   ; encoding: [0x00,0xf0,0x0d,0xbf]

s_bitcmp1_b32 s0, 0x12345678
// GFX13: s_bitcmp1_b32 s0, 0x12345678            ; encoding: [0x00,0xff,0x0d,0xbf,0x78,0x56,0x34,0x12]

s_bitcmp0_b64 s[0:1], s0
// GFX13: s_bitcmp0_b64 s[0:1], s0                ; encoding: [0x00,0x00,0x0e,0xbf]

s_bitcmp0_b64 s[104:105], s0
// GFX13: s_bitcmp0_b64 s[104:105], s0            ; encoding: [0x68,0x00,0x0e,0xbf]

s_bitcmp0_b64 vcc, s0
// GFX13: s_bitcmp0_b64 vcc, s0                   ; encoding: [0x6a,0x00,0x0e,0xbf]

s_bitcmp0_b64 exec, s0
// GFX13: s_bitcmp0_b64 exec, s0                  ; encoding: [0x7e,0x00,0x0e,0xbf]

s_bitcmp0_b64 null, s0
// GFX13: s_bitcmp0_b64 null, s0                  ; encoding: [0x7c,0x00,0x0e,0xbf]

s_bitcmp0_b64 0, s0
// GFX13: s_bitcmp0_b64 0, s0                     ; encoding: [0x80,0x00,0x0e,0xbf]

s_bitcmp0_b64 0.5, s0
// GFX13: s_bitcmp0_b64 0.5, s0                   ; encoding: [0xf0,0x00,0x0e,0xbf]

s_bitcmp0_b64 0x123456789abcdef0, s0
// GFX13: s_bitcmp0_b64 0x123456789abcdef0, s0    ; encoding: [0xfe,0x00,0x0e,0xbf,0xf0,0xde,0xbc,0x9a,0x78,0x56,0x34,0x12]

s_bitcmp0_b64 s[0:1], s105
// GFX13: s_bitcmp0_b64 s[0:1], s105              ; encoding: [0x00,0x69,0x0e,0xbf]

s_bitcmp0_b64 s[0:1], vcc_lo
// GFX13: s_bitcmp0_b64 s[0:1], vcc_lo            ; encoding: [0x00,0x6a,0x0e,0xbf]

s_bitcmp0_b64 s[0:1], exec_lo
// GFX13: s_bitcmp0_b64 s[0:1], exec_lo           ; encoding: [0x00,0x7e,0x0e,0xbf]

s_bitcmp0_b64 s[0:1], m0
// GFX13: s_bitcmp0_b64 s[0:1], m0                ; encoding: [0x00,0x7d,0x0e,0xbf]

s_bitcmp0_b64 s[0:1], null
// GFX13: s_bitcmp0_b64 s[0:1], null              ; encoding: [0x00,0x7c,0x0e,0xbf]

s_bitcmp0_b64 s[0:1], 0
// GFX13: s_bitcmp0_b64 s[0:1], 0                 ; encoding: [0x00,0x80,0x0e,0xbf]

s_bitcmp0_b64 s[0:1], 0.5
// GFX13: s_bitcmp0_b64 s[0:1], 0.5               ; encoding: [0x00,0xf0,0x0e,0xbf]

s_bitcmp0_b64 s[0:1], 0x12345678
// GFX13: s_bitcmp0_b64 s[0:1], 0x12345678        ; encoding: [0x00,0xff,0x0e,0xbf,0x78,0x56,0x34,0x12]

s_bitcmp1_b64 s[0:1], s0
// GFX13: s_bitcmp1_b64 s[0:1], s0                ; encoding: [0x00,0x00,0x0f,0xbf]

s_bitcmp1_b64 s[104:105], s0
// GFX13: s_bitcmp1_b64 s[104:105], s0            ; encoding: [0x68,0x00,0x0f,0xbf]

s_bitcmp1_b64 vcc, s0
// GFX13: s_bitcmp1_b64 vcc, s0                   ; encoding: [0x6a,0x00,0x0f,0xbf]

s_bitcmp1_b64 exec, s0
// GFX13: s_bitcmp1_b64 exec, s0                  ; encoding: [0x7e,0x00,0x0f,0xbf]

s_bitcmp1_b64 null, s0
// GFX13: s_bitcmp1_b64 null, s0                  ; encoding: [0x7c,0x00,0x0f,0xbf]

s_bitcmp1_b64 0, s0
// GFX13: s_bitcmp1_b64 0, s0                     ; encoding: [0x80,0x00,0x0f,0xbf]

s_bitcmp1_b64 0.5, s0
// GFX13: s_bitcmp1_b64 0.5, s0                   ; encoding: [0xf0,0x00,0x0f,0xbf]

s_bitcmp1_b64 0x123456789abcdef0, s0
// GFX13: s_bitcmp1_b64 0x123456789abcdef0, s0    ; encoding: [0xfe,0x00,0x0f,0xbf,0xf0,0xde,0xbc,0x9a,0x78,0x56,0x34,0x12]

s_bitcmp1_b64 s[0:1], s105
// GFX13: s_bitcmp1_b64 s[0:1], s105              ; encoding: [0x00,0x69,0x0f,0xbf]

s_bitcmp1_b64 s[0:1], vcc_lo
// GFX13: s_bitcmp1_b64 s[0:1], vcc_lo            ; encoding: [0x00,0x6a,0x0f,0xbf]

s_bitcmp1_b64 s[0:1], exec_lo
// GFX13: s_bitcmp1_b64 s[0:1], exec_lo           ; encoding: [0x00,0x7e,0x0f,0xbf]

s_bitcmp1_b64 s[0:1], m0
// GFX13: s_bitcmp1_b64 s[0:1], m0                ; encoding: [0x00,0x7d,0x0f,0xbf]

s_bitcmp1_b64 s[0:1], null
// GFX13: s_bitcmp1_b64 s[0:1], null              ; encoding: [0x00,0x7c,0x0f,0xbf]

s_bitcmp1_b64 s[0:1], 0
// GFX13: s_bitcmp1_b64 s[0:1], 0                 ; encoding: [0x00,0x80,0x0f,0xbf]

s_bitcmp1_b64 s[0:1], 0.5
// GFX13: s_bitcmp1_b64 s[0:1], 0.5               ; encoding: [0x00,0xf0,0x0f,0xbf]

s_bitcmp1_b64 s[0:1], 0x12345678
// GFX13: s_bitcmp1_b64 s[0:1], 0x12345678        ; encoding: [0x00,0xff,0x0f,0xbf,0x78,0x56,0x34,0x12]

s_cmp_eq_u64 s[0:1], s[0:1]
// GFX13: s_cmp_eq_u64 s[0:1], s[0:1]             ; encoding: [0x00,0x00,0x12,0xbf]

s_cmp_eq_u64 s[104:105], s[0:1]
// GFX13: s_cmp_eq_u64 s[104:105], s[0:1]         ; encoding: [0x68,0x00,0x12,0xbf]

s_cmp_eq_u64 vcc, s[0:1]
// GFX13: s_cmp_eq_u64 vcc, s[0:1]                ; encoding: [0x6a,0x00,0x12,0xbf]

s_cmp_eq_u64 exec, s[0:1]
// GFX13: s_cmp_eq_u64 exec, s[0:1]               ; encoding: [0x7e,0x00,0x12,0xbf]

s_cmp_eq_u64 null, s[0:1]
// GFX13: s_cmp_eq_u64 null, s[0:1]               ; encoding: [0x7c,0x00,0x12,0xbf]

s_cmp_eq_u64 0, s[0:1]
// GFX13: s_cmp_eq_u64 0, s[0:1]                  ; encoding: [0x80,0x00,0x12,0xbf]

s_cmp_eq_u64 0.5, s[0:1]
// GFX13: s_cmp_eq_u64 0.5, s[0:1]                ; encoding: [0xf0,0x00,0x12,0xbf]

s_cmp_eq_u64 0x123456789abcdef0, s[0:1]
// GFX13: s_cmp_eq_u64 0x123456789abcdef0, s[0:1] ; encoding: [0xfe,0x00,0x12,0xbf,0xf0,0xde,0xbc,0x9a,0x78,0x56,0x34,0x12]

s_cmp_eq_u64 s[0:1], s[104:105]
// GFX13: s_cmp_eq_u64 s[0:1], s[104:105]         ; encoding: [0x00,0x68,0x12,0xbf]

s_cmp_eq_u64 s[0:1], vcc
// GFX13: s_cmp_eq_u64 s[0:1], vcc                ; encoding: [0x00,0x6a,0x12,0xbf]

s_cmp_eq_u64 s[0:1], exec
// GFX13: s_cmp_eq_u64 s[0:1], exec               ; encoding: [0x00,0x7e,0x12,0xbf]

s_cmp_eq_u64 s[0:1], null
// GFX13: s_cmp_eq_u64 s[0:1], null               ; encoding: [0x00,0x7c,0x12,0xbf]

s_cmp_eq_u64 s[0:1], 0
// GFX13: s_cmp_eq_u64 s[0:1], 0                  ; encoding: [0x00,0x80,0x12,0xbf]

s_cmp_eq_u64 s[0:1], 0.5
// GFX13: s_cmp_eq_u64 s[0:1], 0.5                ; encoding: [0x00,0xf0,0x12,0xbf]

s_cmp_eq_u64 s[0:1], 0x123456789abcdef0
// GFX13: s_cmp_eq_u64 s[0:1], 0x123456789abcdef0 ; encoding: [0x00,0xfe,0x12,0xbf,0xf0,0xde,0xbc,0x9a,0x78,0x56,0x34,0x12]

s_cmp_lg_u64 s[0:1], s[0:1]
// GFX13: s_cmp_lg_u64 s[0:1], s[0:1]             ; encoding: [0x00,0x00,0x13,0xbf]

s_cmp_lg_u64 s[104:105], s[0:1]
// GFX13: s_cmp_lg_u64 s[104:105], s[0:1]         ; encoding: [0x68,0x00,0x13,0xbf]

s_cmp_lg_u64 vcc, s[0:1]
// GFX13: s_cmp_lg_u64 vcc, s[0:1]                ; encoding: [0x6a,0x00,0x13,0xbf]

s_cmp_lg_u64 exec, s[0:1]
// GFX13: s_cmp_lg_u64 exec, s[0:1]               ; encoding: [0x7e,0x00,0x13,0xbf]

s_cmp_lg_u64 null, s[0:1]
// GFX13: s_cmp_lg_u64 null, s[0:1]               ; encoding: [0x7c,0x00,0x13,0xbf]

s_cmp_lg_u64 0, s[0:1]
// GFX13: s_cmp_lg_u64 0, s[0:1]                  ; encoding: [0x80,0x00,0x13,0xbf]

s_cmp_lg_u64 0.5, s[0:1]
// GFX13: s_cmp_lg_u64 0.5, s[0:1]                ; encoding: [0xf0,0x00,0x13,0xbf]

s_cmp_lg_u64 0x123456789abcdef0, s[0:1]
// GFX13: s_cmp_lg_u64 0x123456789abcdef0, s[0:1] ; encoding: [0xfe,0x00,0x13,0xbf,0xf0,0xde,0xbc,0x9a,0x78,0x56,0x34,0x12]

s_cmp_lg_u64 s[0:1], s[104:105]
// GFX13: s_cmp_lg_u64 s[0:1], s[104:105]         ; encoding: [0x00,0x68,0x13,0xbf]

s_cmp_lg_u64 s[0:1], vcc
// GFX13: s_cmp_lg_u64 s[0:1], vcc                ; encoding: [0x00,0x6a,0x13,0xbf]

s_cmp_lg_u64 s[0:1], exec
// GFX13: s_cmp_lg_u64 s[0:1], exec               ; encoding: [0x00,0x7e,0x13,0xbf]

s_cmp_lg_u64 s[0:1], null
// GFX13: s_cmp_lg_u64 s[0:1], null               ; encoding: [0x00,0x7c,0x13,0xbf]

s_cmp_lg_u64 s[0:1], 0
// GFX13: s_cmp_lg_u64 s[0:1], 0                  ; encoding: [0x00,0x80,0x13,0xbf]

s_cmp_lg_u64 s[0:1], 0.5
// GFX13: s_cmp_lg_u64 s[0:1], 0.5                ; encoding: [0x00,0xf0,0x13,0xbf]

s_cmp_lg_u64 s[0:1], 0x123456789abcdef0
// GFX13: s_cmp_lg_u64 s[0:1], 0x123456789abcdef0 ; encoding: [0x00,0xfe,0x13,0xbf,0xf0,0xde,0xbc,0x9a,0x78,0x56,0x34,0x12]

s_cmp_lt_f32 s0, s0
// GFX13: s_cmp_lt_f32 s0, s0                     ; encoding: [0x00,0x00,0x41,0xbf]

s_cmp_lt_f32 s105, s0
// GFX13: s_cmp_lt_f32 s105, s0                   ; encoding: [0x69,0x00,0x41,0xbf]

s_cmp_lt_f32 vcc_lo, s0
// GFX13: s_cmp_lt_f32 vcc_lo, s0                 ; encoding: [0x6a,0x00,0x41,0xbf]

s_cmp_lt_f32 exec_lo, s0
// GFX13: s_cmp_lt_f32 exec_lo, s0                ; encoding: [0x7e,0x00,0x41,0xbf]

s_cmp_lt_f32 m0, s0
// GFX13: s_cmp_lt_f32 m0, s0                     ; encoding: [0x7d,0x00,0x41,0xbf]

s_cmp_lt_f32 null, s0
// GFX13: s_cmp_lt_f32 null, s0                   ; encoding: [0x7c,0x00,0x41,0xbf]

s_cmp_lt_f32 0, s0
// GFX13: s_cmp_lt_f32 0, s0                      ; encoding: [0x80,0x00,0x41,0xbf]

s_cmp_lt_f32 0.5, s0
// GFX13: s_cmp_lt_f32 0.5, s0                    ; encoding: [0xf0,0x00,0x41,0xbf]

s_cmp_lt_f32 0x12345678, s0
// GFX13: s_cmp_lt_f32 0x12345678, s0             ; encoding: [0xff,0x00,0x41,0xbf,0x78,0x56,0x34,0x12]

s_cmp_lt_f32 s0, s105
// GFX13: s_cmp_lt_f32 s0, s105                   ; encoding: [0x00,0x69,0x41,0xbf]

s_cmp_lt_f32 s0, vcc_lo
// GFX13: s_cmp_lt_f32 s0, vcc_lo                 ; encoding: [0x00,0x6a,0x41,0xbf]

s_cmp_lt_f32 s0, exec_lo
// GFX13: s_cmp_lt_f32 s0, exec_lo                ; encoding: [0x00,0x7e,0x41,0xbf]

s_cmp_lt_f32 s0, m0
// GFX13: s_cmp_lt_f32 s0, m0                     ; encoding: [0x00,0x7d,0x41,0xbf]

s_cmp_lt_f32 s0, null
// GFX13: s_cmp_lt_f32 s0, null                   ; encoding: [0x00,0x7c,0x41,0xbf]

s_cmp_lt_f32 s0, 0
// GFX13: s_cmp_lt_f32 s0, 0                      ; encoding: [0x00,0x80,0x41,0xbf]

s_cmp_lt_f32 s0, 0.5
// GFX13: s_cmp_lt_f32 s0, 0.5                    ; encoding: [0x00,0xf0,0x41,0xbf]

s_cmp_lt_f32 s0, 0x12345678
// GFX13: s_cmp_lt_f32 s0, 0x12345678             ; encoding: [0x00,0xff,0x41,0xbf,0x78,0x56,0x34,0x12]

s_cmp_eq_f32 s0, s0
// GFX13: s_cmp_eq_f32 s0, s0                     ; encoding: [0x00,0x00,0x42,0xbf]

s_cmp_eq_f32 s105, s0
// GFX13: s_cmp_eq_f32 s105, s0                   ; encoding: [0x69,0x00,0x42,0xbf]

s_cmp_eq_f32 vcc_lo, s0
// GFX13: s_cmp_eq_f32 vcc_lo, s0                 ; encoding: [0x6a,0x00,0x42,0xbf]

s_cmp_eq_f32 exec_lo, s0
// GFX13: s_cmp_eq_f32 exec_lo, s0                ; encoding: [0x7e,0x00,0x42,0xbf]

s_cmp_eq_f32 m0, s0
// GFX13: s_cmp_eq_f32 m0, s0                     ; encoding: [0x7d,0x00,0x42,0xbf]

s_cmp_eq_f32 null, s0
// GFX13: s_cmp_eq_f32 null, s0                   ; encoding: [0x7c,0x00,0x42,0xbf]

s_cmp_eq_f32 0, s0
// GFX13: s_cmp_eq_f32 0, s0                      ; encoding: [0x80,0x00,0x42,0xbf]

s_cmp_eq_f32 0.5, s0
// GFX13: s_cmp_eq_f32 0.5, s0                    ; encoding: [0xf0,0x00,0x42,0xbf]

s_cmp_eq_f32 0x12345678, s0
// GFX13: s_cmp_eq_f32 0x12345678, s0             ; encoding: [0xff,0x00,0x42,0xbf,0x78,0x56,0x34,0x12]

s_cmp_eq_f32 s0, s105
// GFX13: s_cmp_eq_f32 s0, s105                   ; encoding: [0x00,0x69,0x42,0xbf]

s_cmp_eq_f32 s0, vcc_lo
// GFX13: s_cmp_eq_f32 s0, vcc_lo                 ; encoding: [0x00,0x6a,0x42,0xbf]

s_cmp_eq_f32 s0, exec_lo
// GFX13: s_cmp_eq_f32 s0, exec_lo                ; encoding: [0x00,0x7e,0x42,0xbf]

s_cmp_eq_f32 s0, m0
// GFX13: s_cmp_eq_f32 s0, m0                     ; encoding: [0x00,0x7d,0x42,0xbf]

s_cmp_eq_f32 s0, null
// GFX13: s_cmp_eq_f32 s0, null                   ; encoding: [0x00,0x7c,0x42,0xbf]

s_cmp_eq_f32 s0, 0
// GFX13: s_cmp_eq_f32 s0, 0                      ; encoding: [0x00,0x80,0x42,0xbf]

s_cmp_eq_f32 s0, 0.5
// GFX13: s_cmp_eq_f32 s0, 0.5                    ; encoding: [0x00,0xf0,0x42,0xbf]

s_cmp_eq_f32 s0, 0x12345678
// GFX13: s_cmp_eq_f32 s0, 0x12345678             ; encoding: [0x00,0xff,0x42,0xbf,0x78,0x56,0x34,0x12]

s_cmp_le_f32 s0, s0
// GFX13: s_cmp_le_f32 s0, s0                     ; encoding: [0x00,0x00,0x43,0xbf]

s_cmp_le_f32 s105, s0
// GFX13: s_cmp_le_f32 s105, s0                   ; encoding: [0x69,0x00,0x43,0xbf]

s_cmp_le_f32 vcc_lo, s0
// GFX13: s_cmp_le_f32 vcc_lo, s0                 ; encoding: [0x6a,0x00,0x43,0xbf]

s_cmp_le_f32 exec_lo, s0
// GFX13: s_cmp_le_f32 exec_lo, s0                ; encoding: [0x7e,0x00,0x43,0xbf]

s_cmp_le_f32 m0, s0
// GFX13: s_cmp_le_f32 m0, s0                     ; encoding: [0x7d,0x00,0x43,0xbf]

s_cmp_le_f32 null, s0
// GFX13: s_cmp_le_f32 null, s0                   ; encoding: [0x7c,0x00,0x43,0xbf]

s_cmp_le_f32 0, s0
// GFX13: s_cmp_le_f32 0, s0                      ; encoding: [0x80,0x00,0x43,0xbf]

s_cmp_le_f32 0.5, s0
// GFX13: s_cmp_le_f32 0.5, s0                    ; encoding: [0xf0,0x00,0x43,0xbf]

s_cmp_le_f32 0x12345678, s0
// GFX13: s_cmp_le_f32 0x12345678, s0             ; encoding: [0xff,0x00,0x43,0xbf,0x78,0x56,0x34,0x12]

s_cmp_le_f32 s0, s105
// GFX13: s_cmp_le_f32 s0, s105                   ; encoding: [0x00,0x69,0x43,0xbf]

s_cmp_le_f32 s0, vcc_lo
// GFX13: s_cmp_le_f32 s0, vcc_lo                 ; encoding: [0x00,0x6a,0x43,0xbf]

s_cmp_le_f32 s0, exec_lo
// GFX13: s_cmp_le_f32 s0, exec_lo                ; encoding: [0x00,0x7e,0x43,0xbf]

s_cmp_le_f32 s0, m0
// GFX13: s_cmp_le_f32 s0, m0                     ; encoding: [0x00,0x7d,0x43,0xbf]

s_cmp_le_f32 s0, null
// GFX13: s_cmp_le_f32 s0, null                   ; encoding: [0x00,0x7c,0x43,0xbf]

s_cmp_le_f32 s0, 0
// GFX13: s_cmp_le_f32 s0, 0                      ; encoding: [0x00,0x80,0x43,0xbf]

s_cmp_le_f32 s0, 0.5
// GFX13: s_cmp_le_f32 s0, 0.5                    ; encoding: [0x00,0xf0,0x43,0xbf]

s_cmp_le_f32 s0, 0x12345678
// GFX13: s_cmp_le_f32 s0, 0x12345678             ; encoding: [0x00,0xff,0x43,0xbf,0x78,0x56,0x34,0x12]

s_cmp_gt_f32 s0, s0
// GFX13: s_cmp_gt_f32 s0, s0                     ; encoding: [0x00,0x00,0x44,0xbf]

s_cmp_gt_f32 s105, s0
// GFX13: s_cmp_gt_f32 s105, s0                   ; encoding: [0x69,0x00,0x44,0xbf]

s_cmp_gt_f32 vcc_lo, s0
// GFX13: s_cmp_gt_f32 vcc_lo, s0                 ; encoding: [0x6a,0x00,0x44,0xbf]

s_cmp_gt_f32 exec_lo, s0
// GFX13: s_cmp_gt_f32 exec_lo, s0                ; encoding: [0x7e,0x00,0x44,0xbf]

s_cmp_gt_f32 m0, s0
// GFX13: s_cmp_gt_f32 m0, s0                     ; encoding: [0x7d,0x00,0x44,0xbf]

s_cmp_gt_f32 null, s0
// GFX13: s_cmp_gt_f32 null, s0                   ; encoding: [0x7c,0x00,0x44,0xbf]

s_cmp_gt_f32 0, s0
// GFX13: s_cmp_gt_f32 0, s0                      ; encoding: [0x80,0x00,0x44,0xbf]

s_cmp_gt_f32 0.5, s0
// GFX13: s_cmp_gt_f32 0.5, s0                    ; encoding: [0xf0,0x00,0x44,0xbf]

s_cmp_gt_f32 0x12345678, s0
// GFX13: s_cmp_gt_f32 0x12345678, s0             ; encoding: [0xff,0x00,0x44,0xbf,0x78,0x56,0x34,0x12]

s_cmp_gt_f32 s0, s105
// GFX13: s_cmp_gt_f32 s0, s105                   ; encoding: [0x00,0x69,0x44,0xbf]

s_cmp_gt_f32 s0, vcc_lo
// GFX13: s_cmp_gt_f32 s0, vcc_lo                 ; encoding: [0x00,0x6a,0x44,0xbf]

s_cmp_gt_f32 s0, exec_lo
// GFX13: s_cmp_gt_f32 s0, exec_lo                ; encoding: [0x00,0x7e,0x44,0xbf]

s_cmp_gt_f32 s0, m0
// GFX13: s_cmp_gt_f32 s0, m0                     ; encoding: [0x00,0x7d,0x44,0xbf]

s_cmp_gt_f32 s0, null
// GFX13: s_cmp_gt_f32 s0, null                   ; encoding: [0x00,0x7c,0x44,0xbf]

s_cmp_gt_f32 s0, 0
// GFX13: s_cmp_gt_f32 s0, 0                      ; encoding: [0x00,0x80,0x44,0xbf]

s_cmp_gt_f32 s0, 0.5
// GFX13: s_cmp_gt_f32 s0, 0.5                    ; encoding: [0x00,0xf0,0x44,0xbf]

s_cmp_gt_f32 s0, 0x12345678
// GFX13: s_cmp_gt_f32 s0, 0x12345678             ; encoding: [0x00,0xff,0x44,0xbf,0x78,0x56,0x34,0x12]

s_cmp_lg_f32 s0, s0
// GFX13: s_cmp_lg_f32 s0, s0                     ; encoding: [0x00,0x00,0x45,0xbf]

s_cmp_lg_f32 s105, s0
// GFX13: s_cmp_lg_f32 s105, s0                   ; encoding: [0x69,0x00,0x45,0xbf]

s_cmp_lg_f32 vcc_lo, s0
// GFX13: s_cmp_lg_f32 vcc_lo, s0                 ; encoding: [0x6a,0x00,0x45,0xbf]

s_cmp_lg_f32 exec_lo, s0
// GFX13: s_cmp_lg_f32 exec_lo, s0                ; encoding: [0x7e,0x00,0x45,0xbf]

s_cmp_lg_f32 m0, s0
// GFX13: s_cmp_lg_f32 m0, s0                     ; encoding: [0x7d,0x00,0x45,0xbf]

s_cmp_lg_f32 null, s0
// GFX13: s_cmp_lg_f32 null, s0                   ; encoding: [0x7c,0x00,0x45,0xbf]

s_cmp_lg_f32 0, s0
// GFX13: s_cmp_lg_f32 0, s0                      ; encoding: [0x80,0x00,0x45,0xbf]

s_cmp_lg_f32 0.5, s0
// GFX13: s_cmp_lg_f32 0.5, s0                    ; encoding: [0xf0,0x00,0x45,0xbf]

s_cmp_lg_f32 0x12345678, s0
// GFX13: s_cmp_lg_f32 0x12345678, s0             ; encoding: [0xff,0x00,0x45,0xbf,0x78,0x56,0x34,0x12]

s_cmp_lg_f32 s0, s105
// GFX13: s_cmp_lg_f32 s0, s105                   ; encoding: [0x00,0x69,0x45,0xbf]

s_cmp_lg_f32 s0, vcc_lo
// GFX13: s_cmp_lg_f32 s0, vcc_lo                 ; encoding: [0x00,0x6a,0x45,0xbf]

s_cmp_lg_f32 s0, exec_lo
// GFX13: s_cmp_lg_f32 s0, exec_lo                ; encoding: [0x00,0x7e,0x45,0xbf]

s_cmp_lg_f32 s0, m0
// GFX13: s_cmp_lg_f32 s0, m0                     ; encoding: [0x00,0x7d,0x45,0xbf]

s_cmp_lg_f32 s0, null
// GFX13: s_cmp_lg_f32 s0, null                   ; encoding: [0x00,0x7c,0x45,0xbf]

s_cmp_lg_f32 s0, 0
// GFX13: s_cmp_lg_f32 s0, 0                      ; encoding: [0x00,0x80,0x45,0xbf]

s_cmp_lg_f32 s0, 0.5
// GFX13: s_cmp_lg_f32 s0, 0.5                    ; encoding: [0x00,0xf0,0x45,0xbf]

s_cmp_lg_f32 s0, 0x12345678
// GFX13: s_cmp_lg_f32 s0, 0x12345678             ; encoding: [0x00,0xff,0x45,0xbf,0x78,0x56,0x34,0x12]

s_cmp_ge_f32 s0, s0
// GFX13: s_cmp_ge_f32 s0, s0                     ; encoding: [0x00,0x00,0x46,0xbf]

s_cmp_ge_f32 s105, s0
// GFX13: s_cmp_ge_f32 s105, s0                   ; encoding: [0x69,0x00,0x46,0xbf]

s_cmp_ge_f32 vcc_lo, s0
// GFX13: s_cmp_ge_f32 vcc_lo, s0                 ; encoding: [0x6a,0x00,0x46,0xbf]

s_cmp_ge_f32 exec_lo, s0
// GFX13: s_cmp_ge_f32 exec_lo, s0                ; encoding: [0x7e,0x00,0x46,0xbf]

s_cmp_ge_f32 m0, s0
// GFX13: s_cmp_ge_f32 m0, s0                     ; encoding: [0x7d,0x00,0x46,0xbf]

s_cmp_ge_f32 null, s0
// GFX13: s_cmp_ge_f32 null, s0                   ; encoding: [0x7c,0x00,0x46,0xbf]

s_cmp_ge_f32 0, s0
// GFX13: s_cmp_ge_f32 0, s0                      ; encoding: [0x80,0x00,0x46,0xbf]

s_cmp_ge_f32 0.5, s0
// GFX13: s_cmp_ge_f32 0.5, s0                    ; encoding: [0xf0,0x00,0x46,0xbf]

s_cmp_ge_f32 0x12345678, s0
// GFX13: s_cmp_ge_f32 0x12345678, s0             ; encoding: [0xff,0x00,0x46,0xbf,0x78,0x56,0x34,0x12]

s_cmp_ge_f32 s0, s105
// GFX13: s_cmp_ge_f32 s0, s105                   ; encoding: [0x00,0x69,0x46,0xbf]

s_cmp_ge_f32 s0, vcc_lo
// GFX13: s_cmp_ge_f32 s0, vcc_lo                 ; encoding: [0x00,0x6a,0x46,0xbf]

s_cmp_ge_f32 s0, exec_lo
// GFX13: s_cmp_ge_f32 s0, exec_lo                ; encoding: [0x00,0x7e,0x46,0xbf]

s_cmp_ge_f32 s0, m0
// GFX13: s_cmp_ge_f32 s0, m0                     ; encoding: [0x00,0x7d,0x46,0xbf]

s_cmp_ge_f32 s0, null
// GFX13: s_cmp_ge_f32 s0, null                   ; encoding: [0x00,0x7c,0x46,0xbf]

s_cmp_ge_f32 s0, 0
// GFX13: s_cmp_ge_f32 s0, 0                      ; encoding: [0x00,0x80,0x46,0xbf]

s_cmp_ge_f32 s0, 0.5
// GFX13: s_cmp_ge_f32 s0, 0.5                    ; encoding: [0x00,0xf0,0x46,0xbf]

s_cmp_ge_f32 s0, 0x12345678
// GFX13: s_cmp_ge_f32 s0, 0x12345678             ; encoding: [0x00,0xff,0x46,0xbf,0x78,0x56,0x34,0x12]

s_cmp_o_f32 s0, s0
// GFX13: s_cmp_o_f32 s0, s0                      ; encoding: [0x00,0x00,0x47,0xbf]

s_cmp_o_f32 s105, s0
// GFX13: s_cmp_o_f32 s105, s0                    ; encoding: [0x69,0x00,0x47,0xbf]

s_cmp_o_f32 vcc_lo, s0
// GFX13: s_cmp_o_f32 vcc_lo, s0                  ; encoding: [0x6a,0x00,0x47,0xbf]

s_cmp_o_f32 exec_lo, s0
// GFX13: s_cmp_o_f32 exec_lo, s0                 ; encoding: [0x7e,0x00,0x47,0xbf]

s_cmp_o_f32 m0, s0
// GFX13: s_cmp_o_f32 m0, s0                      ; encoding: [0x7d,0x00,0x47,0xbf]

s_cmp_o_f32 null, s0
// GFX13: s_cmp_o_f32 null, s0                    ; encoding: [0x7c,0x00,0x47,0xbf]

s_cmp_o_f32 0, s0
// GFX13: s_cmp_o_f32 0, s0                       ; encoding: [0x80,0x00,0x47,0xbf]

s_cmp_o_f32 0.5, s0
// GFX13: s_cmp_o_f32 0.5, s0                     ; encoding: [0xf0,0x00,0x47,0xbf]

s_cmp_o_f32 0x12345678, s0
// GFX13: s_cmp_o_f32 0x12345678, s0              ; encoding: [0xff,0x00,0x47,0xbf,0x78,0x56,0x34,0x12]

s_cmp_o_f32 s0, s105
// GFX13: s_cmp_o_f32 s0, s105                    ; encoding: [0x00,0x69,0x47,0xbf]

s_cmp_o_f32 s0, vcc_lo
// GFX13: s_cmp_o_f32 s0, vcc_lo                  ; encoding: [0x00,0x6a,0x47,0xbf]

s_cmp_o_f32 s0, exec_lo
// GFX13: s_cmp_o_f32 s0, exec_lo                 ; encoding: [0x00,0x7e,0x47,0xbf]

s_cmp_o_f32 s0, m0
// GFX13: s_cmp_o_f32 s0, m0                      ; encoding: [0x00,0x7d,0x47,0xbf]

s_cmp_o_f32 s0, null
// GFX13: s_cmp_o_f32 s0, null                    ; encoding: [0x00,0x7c,0x47,0xbf]

s_cmp_o_f32 s0, 0
// GFX13: s_cmp_o_f32 s0, 0                       ; encoding: [0x00,0x80,0x47,0xbf]

s_cmp_o_f32 s0, 0.5
// GFX13: s_cmp_o_f32 s0, 0.5                     ; encoding: [0x00,0xf0,0x47,0xbf]

s_cmp_o_f32 s0, 0x12345678
// GFX13: s_cmp_o_f32 s0, 0x12345678              ; encoding: [0x00,0xff,0x47,0xbf,0x78,0x56,0x34,0x12]

s_cmp_u_f32 s0, s0
// GFX13: s_cmp_u_f32 s0, s0                      ; encoding: [0x00,0x00,0x48,0xbf]

s_cmp_u_f32 s105, s0
// GFX13: s_cmp_u_f32 s105, s0                    ; encoding: [0x69,0x00,0x48,0xbf]

s_cmp_u_f32 vcc_lo, s0
// GFX13: s_cmp_u_f32 vcc_lo, s0                  ; encoding: [0x6a,0x00,0x48,0xbf]

s_cmp_u_f32 exec_lo, s0
// GFX13: s_cmp_u_f32 exec_lo, s0                 ; encoding: [0x7e,0x00,0x48,0xbf]

s_cmp_u_f32 m0, s0
// GFX13: s_cmp_u_f32 m0, s0                      ; encoding: [0x7d,0x00,0x48,0xbf]

s_cmp_u_f32 null, s0
// GFX13: s_cmp_u_f32 null, s0                    ; encoding: [0x7c,0x00,0x48,0xbf]

s_cmp_u_f32 0, s0
// GFX13: s_cmp_u_f32 0, s0                       ; encoding: [0x80,0x00,0x48,0xbf]

s_cmp_u_f32 0.5, s0
// GFX13: s_cmp_u_f32 0.5, s0                     ; encoding: [0xf0,0x00,0x48,0xbf]

s_cmp_u_f32 0x12345678, s0
// GFX13: s_cmp_u_f32 0x12345678, s0              ; encoding: [0xff,0x00,0x48,0xbf,0x78,0x56,0x34,0x12]

s_cmp_u_f32 s0, s105
// GFX13: s_cmp_u_f32 s0, s105                    ; encoding: [0x00,0x69,0x48,0xbf]

s_cmp_u_f32 s0, vcc_lo
// GFX13: s_cmp_u_f32 s0, vcc_lo                  ; encoding: [0x00,0x6a,0x48,0xbf]

s_cmp_u_f32 s0, exec_lo
// GFX13: s_cmp_u_f32 s0, exec_lo                 ; encoding: [0x00,0x7e,0x48,0xbf]

s_cmp_u_f32 s0, m0
// GFX13: s_cmp_u_f32 s0, m0                      ; encoding: [0x00,0x7d,0x48,0xbf]

s_cmp_u_f32 s0, null
// GFX13: s_cmp_u_f32 s0, null                    ; encoding: [0x00,0x7c,0x48,0xbf]

s_cmp_u_f32 s0, 0
// GFX13: s_cmp_u_f32 s0, 0                       ; encoding: [0x00,0x80,0x48,0xbf]

s_cmp_u_f32 s0, 0.5
// GFX13: s_cmp_u_f32 s0, 0.5                     ; encoding: [0x00,0xf0,0x48,0xbf]

s_cmp_u_f32 s0, 0x12345678
// GFX13: s_cmp_u_f32 s0, 0x12345678              ; encoding: [0x00,0xff,0x48,0xbf,0x78,0x56,0x34,0x12]

s_cmp_nge_f32 s0, s0
// GFX13: s_cmp_nge_f32 s0, s0                    ; encoding: [0x00,0x00,0x49,0xbf]

s_cmp_nge_f32 s105, s0
// GFX13: s_cmp_nge_f32 s105, s0                  ; encoding: [0x69,0x00,0x49,0xbf]

s_cmp_nge_f32 vcc_lo, s0
// GFX13: s_cmp_nge_f32 vcc_lo, s0                ; encoding: [0x6a,0x00,0x49,0xbf]

s_cmp_nge_f32 exec_lo, s0
// GFX13: s_cmp_nge_f32 exec_lo, s0               ; encoding: [0x7e,0x00,0x49,0xbf]

s_cmp_nge_f32 m0, s0
// GFX13: s_cmp_nge_f32 m0, s0                    ; encoding: [0x7d,0x00,0x49,0xbf]

s_cmp_nge_f32 null, s0
// GFX13: s_cmp_nge_f32 null, s0                  ; encoding: [0x7c,0x00,0x49,0xbf]

s_cmp_nge_f32 0, s0
// GFX13: s_cmp_nge_f32 0, s0                     ; encoding: [0x80,0x00,0x49,0xbf]

s_cmp_nge_f32 0.5, s0
// GFX13: s_cmp_nge_f32 0.5, s0                   ; encoding: [0xf0,0x00,0x49,0xbf]

s_cmp_nge_f32 0x12345678, s0
// GFX13: s_cmp_nge_f32 0x12345678, s0            ; encoding: [0xff,0x00,0x49,0xbf,0x78,0x56,0x34,0x12]

s_cmp_nge_f32 s0, s105
// GFX13: s_cmp_nge_f32 s0, s105                  ; encoding: [0x00,0x69,0x49,0xbf]

s_cmp_nge_f32 s0, vcc_lo
// GFX13: s_cmp_nge_f32 s0, vcc_lo                ; encoding: [0x00,0x6a,0x49,0xbf]

s_cmp_nge_f32 s0, exec_lo
// GFX13: s_cmp_nge_f32 s0, exec_lo               ; encoding: [0x00,0x7e,0x49,0xbf]

s_cmp_nge_f32 s0, m0
// GFX13: s_cmp_nge_f32 s0, m0                    ; encoding: [0x00,0x7d,0x49,0xbf]

s_cmp_nge_f32 s0, null
// GFX13: s_cmp_nge_f32 s0, null                  ; encoding: [0x00,0x7c,0x49,0xbf]

s_cmp_nge_f32 s0, 0
// GFX13: s_cmp_nge_f32 s0, 0                     ; encoding: [0x00,0x80,0x49,0xbf]

s_cmp_nge_f32 s0, 0.5
// GFX13: s_cmp_nge_f32 s0, 0.5                   ; encoding: [0x00,0xf0,0x49,0xbf]

s_cmp_nge_f32 s0, 0x12345678
// GFX13: s_cmp_nge_f32 s0, 0x12345678            ; encoding: [0x00,0xff,0x49,0xbf,0x78,0x56,0x34,0x12]

s_cmp_nlg_f32 s0, s0
// GFX13: s_cmp_nlg_f32 s0, s0                    ; encoding: [0x00,0x00,0x4a,0xbf]

s_cmp_nlg_f32 s105, s0
// GFX13: s_cmp_nlg_f32 s105, s0                  ; encoding: [0x69,0x00,0x4a,0xbf]

s_cmp_nlg_f32 vcc_lo, s0
// GFX13: s_cmp_nlg_f32 vcc_lo, s0                ; encoding: [0x6a,0x00,0x4a,0xbf]

s_cmp_nlg_f32 exec_lo, s0
// GFX13: s_cmp_nlg_f32 exec_lo, s0               ; encoding: [0x7e,0x00,0x4a,0xbf]

s_cmp_nlg_f32 m0, s0
// GFX13: s_cmp_nlg_f32 m0, s0                    ; encoding: [0x7d,0x00,0x4a,0xbf]

s_cmp_nlg_f32 null, s0
// GFX13: s_cmp_nlg_f32 null, s0                  ; encoding: [0x7c,0x00,0x4a,0xbf]

s_cmp_nlg_f32 0, s0
// GFX13: s_cmp_nlg_f32 0, s0                     ; encoding: [0x80,0x00,0x4a,0xbf]

s_cmp_nlg_f32 0.5, s0
// GFX13: s_cmp_nlg_f32 0.5, s0                   ; encoding: [0xf0,0x00,0x4a,0xbf]

s_cmp_nlg_f32 0x12345678, s0
// GFX13: s_cmp_nlg_f32 0x12345678, s0            ; encoding: [0xff,0x00,0x4a,0xbf,0x78,0x56,0x34,0x12]

s_cmp_nlg_f32 s0, s105
// GFX13: s_cmp_nlg_f32 s0, s105                  ; encoding: [0x00,0x69,0x4a,0xbf]

s_cmp_nlg_f32 s0, vcc_lo
// GFX13: s_cmp_nlg_f32 s0, vcc_lo                ; encoding: [0x00,0x6a,0x4a,0xbf]

s_cmp_nlg_f32 s0, exec_lo
// GFX13: s_cmp_nlg_f32 s0, exec_lo               ; encoding: [0x00,0x7e,0x4a,0xbf]

s_cmp_nlg_f32 s0, m0
// GFX13: s_cmp_nlg_f32 s0, m0                    ; encoding: [0x00,0x7d,0x4a,0xbf]

s_cmp_nlg_f32 s0, null
// GFX13: s_cmp_nlg_f32 s0, null                  ; encoding: [0x00,0x7c,0x4a,0xbf]

s_cmp_nlg_f32 s0, 0
// GFX13: s_cmp_nlg_f32 s0, 0                     ; encoding: [0x00,0x80,0x4a,0xbf]

s_cmp_nlg_f32 s0, 0.5
// GFX13: s_cmp_nlg_f32 s0, 0.5                   ; encoding: [0x00,0xf0,0x4a,0xbf]

s_cmp_nlg_f32 s0, 0x12345678
// GFX13: s_cmp_nlg_f32 s0, 0x12345678            ; encoding: [0x00,0xff,0x4a,0xbf,0x78,0x56,0x34,0x12]

s_cmp_ngt_f32 s0, s0
// GFX13: s_cmp_ngt_f32 s0, s0                    ; encoding: [0x00,0x00,0x4b,0xbf]

s_cmp_ngt_f32 s105, s0
// GFX13: s_cmp_ngt_f32 s105, s0                  ; encoding: [0x69,0x00,0x4b,0xbf]

s_cmp_ngt_f32 vcc_lo, s0
// GFX13: s_cmp_ngt_f32 vcc_lo, s0                ; encoding: [0x6a,0x00,0x4b,0xbf]

s_cmp_ngt_f32 exec_lo, s0
// GFX13: s_cmp_ngt_f32 exec_lo, s0               ; encoding: [0x7e,0x00,0x4b,0xbf]

s_cmp_ngt_f32 m0, s0
// GFX13: s_cmp_ngt_f32 m0, s0                    ; encoding: [0x7d,0x00,0x4b,0xbf]

s_cmp_ngt_f32 null, s0
// GFX13: s_cmp_ngt_f32 null, s0                  ; encoding: [0x7c,0x00,0x4b,0xbf]

s_cmp_ngt_f32 0, s0
// GFX13: s_cmp_ngt_f32 0, s0                     ; encoding: [0x80,0x00,0x4b,0xbf]

s_cmp_ngt_f32 0.5, s0
// GFX13: s_cmp_ngt_f32 0.5, s0                   ; encoding: [0xf0,0x00,0x4b,0xbf]

s_cmp_ngt_f32 0x12345678, s0
// GFX13: s_cmp_ngt_f32 0x12345678, s0            ; encoding: [0xff,0x00,0x4b,0xbf,0x78,0x56,0x34,0x12]

s_cmp_ngt_f32 s0, s105
// GFX13: s_cmp_ngt_f32 s0, s105                  ; encoding: [0x00,0x69,0x4b,0xbf]

s_cmp_ngt_f32 s0, vcc_lo
// GFX13: s_cmp_ngt_f32 s0, vcc_lo                ; encoding: [0x00,0x6a,0x4b,0xbf]

s_cmp_ngt_f32 s0, exec_lo
// GFX13: s_cmp_ngt_f32 s0, exec_lo               ; encoding: [0x00,0x7e,0x4b,0xbf]

s_cmp_ngt_f32 s0, m0
// GFX13: s_cmp_ngt_f32 s0, m0                    ; encoding: [0x00,0x7d,0x4b,0xbf]

s_cmp_ngt_f32 s0, null
// GFX13: s_cmp_ngt_f32 s0, null                  ; encoding: [0x00,0x7c,0x4b,0xbf]

s_cmp_ngt_f32 s0, 0
// GFX13: s_cmp_ngt_f32 s0, 0                     ; encoding: [0x00,0x80,0x4b,0xbf]

s_cmp_ngt_f32 s0, 0.5
// GFX13: s_cmp_ngt_f32 s0, 0.5                   ; encoding: [0x00,0xf0,0x4b,0xbf]

s_cmp_ngt_f32 s0, 0x12345678
// GFX13: s_cmp_ngt_f32 s0, 0x12345678            ; encoding: [0x00,0xff,0x4b,0xbf,0x78,0x56,0x34,0x12]

s_cmp_nle_f32 s0, s0
// GFX13: s_cmp_nle_f32 s0, s0                    ; encoding: [0x00,0x00,0x4c,0xbf]

s_cmp_nle_f32 s105, s0
// GFX13: s_cmp_nle_f32 s105, s0                  ; encoding: [0x69,0x00,0x4c,0xbf]

s_cmp_nle_f32 vcc_lo, s0
// GFX13: s_cmp_nle_f32 vcc_lo, s0                ; encoding: [0x6a,0x00,0x4c,0xbf]

s_cmp_nle_f32 exec_lo, s0
// GFX13: s_cmp_nle_f32 exec_lo, s0               ; encoding: [0x7e,0x00,0x4c,0xbf]

s_cmp_nle_f32 m0, s0
// GFX13: s_cmp_nle_f32 m0, s0                    ; encoding: [0x7d,0x00,0x4c,0xbf]

s_cmp_nle_f32 null, s0
// GFX13: s_cmp_nle_f32 null, s0                  ; encoding: [0x7c,0x00,0x4c,0xbf]

s_cmp_nle_f32 0, s0
// GFX13: s_cmp_nle_f32 0, s0                     ; encoding: [0x80,0x00,0x4c,0xbf]

s_cmp_nle_f32 0.5, s0
// GFX13: s_cmp_nle_f32 0.5, s0                   ; encoding: [0xf0,0x00,0x4c,0xbf]

s_cmp_nle_f32 0x12345678, s0
// GFX13: s_cmp_nle_f32 0x12345678, s0            ; encoding: [0xff,0x00,0x4c,0xbf,0x78,0x56,0x34,0x12]

s_cmp_nle_f32 s0, s105
// GFX13: s_cmp_nle_f32 s0, s105                  ; encoding: [0x00,0x69,0x4c,0xbf]

s_cmp_nle_f32 s0, vcc_lo
// GFX13: s_cmp_nle_f32 s0, vcc_lo                ; encoding: [0x00,0x6a,0x4c,0xbf]

s_cmp_nle_f32 s0, exec_lo
// GFX13: s_cmp_nle_f32 s0, exec_lo               ; encoding: [0x00,0x7e,0x4c,0xbf]

s_cmp_nle_f32 s0, m0
// GFX13: s_cmp_nle_f32 s0, m0                    ; encoding: [0x00,0x7d,0x4c,0xbf]

s_cmp_nle_f32 s0, null
// GFX13: s_cmp_nle_f32 s0, null                  ; encoding: [0x00,0x7c,0x4c,0xbf]

s_cmp_nle_f32 s0, 0
// GFX13: s_cmp_nle_f32 s0, 0                     ; encoding: [0x00,0x80,0x4c,0xbf]

s_cmp_nle_f32 s0, 0.5
// GFX13: s_cmp_nle_f32 s0, 0.5                   ; encoding: [0x00,0xf0,0x4c,0xbf]

s_cmp_nle_f32 s0, 0x12345678
// GFX13: s_cmp_nle_f32 s0, 0x12345678            ; encoding: [0x00,0xff,0x4c,0xbf,0x78,0x56,0x34,0x12]

s_cmp_neq_f32 s0, s0
// GFX13: s_cmp_neq_f32 s0, s0                    ; encoding: [0x00,0x00,0x4d,0xbf]

s_cmp_neq_f32 s105, s0
// GFX13: s_cmp_neq_f32 s105, s0                  ; encoding: [0x69,0x00,0x4d,0xbf]

s_cmp_neq_f32 vcc_lo, s0
// GFX13: s_cmp_neq_f32 vcc_lo, s0                ; encoding: [0x6a,0x00,0x4d,0xbf]

s_cmp_neq_f32 exec_lo, s0
// GFX13: s_cmp_neq_f32 exec_lo, s0               ; encoding: [0x7e,0x00,0x4d,0xbf]

s_cmp_neq_f32 m0, s0
// GFX13: s_cmp_neq_f32 m0, s0                    ; encoding: [0x7d,0x00,0x4d,0xbf]

s_cmp_neq_f32 null, s0
// GFX13: s_cmp_neq_f32 null, s0                  ; encoding: [0x7c,0x00,0x4d,0xbf]

s_cmp_neq_f32 0, s0
// GFX13: s_cmp_neq_f32 0, s0                     ; encoding: [0x80,0x00,0x4d,0xbf]

s_cmp_neq_f32 0.5, s0
// GFX13: s_cmp_neq_f32 0.5, s0                   ; encoding: [0xf0,0x00,0x4d,0xbf]

s_cmp_neq_f32 0x12345678, s0
// GFX13: s_cmp_neq_f32 0x12345678, s0            ; encoding: [0xff,0x00,0x4d,0xbf,0x78,0x56,0x34,0x12]

s_cmp_neq_f32 s0, s105
// GFX13: s_cmp_neq_f32 s0, s105                  ; encoding: [0x00,0x69,0x4d,0xbf]

s_cmp_neq_f32 s0, vcc_lo
// GFX13: s_cmp_neq_f32 s0, vcc_lo                ; encoding: [0x00,0x6a,0x4d,0xbf]

s_cmp_neq_f32 s0, exec_lo
// GFX13: s_cmp_neq_f32 s0, exec_lo               ; encoding: [0x00,0x7e,0x4d,0xbf]

s_cmp_neq_f32 s0, m0
// GFX13: s_cmp_neq_f32 s0, m0                    ; encoding: [0x00,0x7d,0x4d,0xbf]

s_cmp_neq_f32 s0, null
// GFX13: s_cmp_neq_f32 s0, null                  ; encoding: [0x00,0x7c,0x4d,0xbf]

s_cmp_neq_f32 s0, 0
// GFX13: s_cmp_neq_f32 s0, 0                     ; encoding: [0x00,0x80,0x4d,0xbf]

s_cmp_neq_f32 s0, 0.5
// GFX13: s_cmp_neq_f32 s0, 0.5                   ; encoding: [0x00,0xf0,0x4d,0xbf]

s_cmp_neq_f32 s0, 0x12345678
// GFX13: s_cmp_neq_f32 s0, 0x12345678            ; encoding: [0x00,0xff,0x4d,0xbf,0x78,0x56,0x34,0x12]

s_cmp_nlt_f32 s0, s0
// GFX13: s_cmp_nlt_f32 s0, s0                    ; encoding: [0x00,0x00,0x4e,0xbf]

s_cmp_nlt_f32 s105, s0
// GFX13: s_cmp_nlt_f32 s105, s0                  ; encoding: [0x69,0x00,0x4e,0xbf]

s_cmp_nlt_f32 vcc_lo, s0
// GFX13: s_cmp_nlt_f32 vcc_lo, s0                ; encoding: [0x6a,0x00,0x4e,0xbf]

s_cmp_nlt_f32 exec_lo, s0
// GFX13: s_cmp_nlt_f32 exec_lo, s0               ; encoding: [0x7e,0x00,0x4e,0xbf]

s_cmp_nlt_f32 m0, s0
// GFX13: s_cmp_nlt_f32 m0, s0                    ; encoding: [0x7d,0x00,0x4e,0xbf]

s_cmp_nlt_f32 null, s0
// GFX13: s_cmp_nlt_f32 null, s0                  ; encoding: [0x7c,0x00,0x4e,0xbf]

s_cmp_nlt_f32 0, s0
// GFX13: s_cmp_nlt_f32 0, s0                     ; encoding: [0x80,0x00,0x4e,0xbf]

s_cmp_nlt_f32 0.5, s0
// GFX13: s_cmp_nlt_f32 0.5, s0                   ; encoding: [0xf0,0x00,0x4e,0xbf]

s_cmp_nlt_f32 0x12345678, s0
// GFX13: s_cmp_nlt_f32 0x12345678, s0            ; encoding: [0xff,0x00,0x4e,0xbf,0x78,0x56,0x34,0x12]

s_cmp_nlt_f32 s0, s105
// GFX13: s_cmp_nlt_f32 s0, s105                  ; encoding: [0x00,0x69,0x4e,0xbf]

s_cmp_nlt_f32 s0, vcc_lo
// GFX13: s_cmp_nlt_f32 s0, vcc_lo                ; encoding: [0x00,0x6a,0x4e,0xbf]

s_cmp_nlt_f32 s0, exec_lo
// GFX13: s_cmp_nlt_f32 s0, exec_lo               ; encoding: [0x00,0x7e,0x4e,0xbf]

s_cmp_nlt_f32 s0, m0
// GFX13: s_cmp_nlt_f32 s0, m0                    ; encoding: [0x00,0x7d,0x4e,0xbf]

s_cmp_nlt_f32 s0, null
// GFX13: s_cmp_nlt_f32 s0, null                  ; encoding: [0x00,0x7c,0x4e,0xbf]

s_cmp_nlt_f32 s0, 0
// GFX13: s_cmp_nlt_f32 s0, 0                     ; encoding: [0x00,0x80,0x4e,0xbf]

s_cmp_nlt_f32 s0, 0.5
// GFX13: s_cmp_nlt_f32 s0, 0.5                   ; encoding: [0x00,0xf0,0x4e,0xbf]

s_cmp_nlt_f32 s0, 0x12345678
// GFX13: s_cmp_nlt_f32 s0, 0x12345678            ; encoding: [0x00,0xff,0x4e,0xbf,0x78,0x56,0x34,0x12]

s_cmp_lt_f16 s0, s0
// GFX13: s_cmp_lt_f16 s0, s0                     ; encoding: [0x00,0x00,0x51,0xbf]

s_cmp_lt_f16 s105, s0
// GFX13: s_cmp_lt_f16 s105, s0                   ; encoding: [0x69,0x00,0x51,0xbf]

s_cmp_lt_f16 vcc_lo, s0
// GFX13: s_cmp_lt_f16 vcc_lo, s0                 ; encoding: [0x6a,0x00,0x51,0xbf]

s_cmp_lt_f16 exec_lo, s0
// GFX13: s_cmp_lt_f16 exec_lo, s0                ; encoding: [0x7e,0x00,0x51,0xbf]

s_cmp_lt_f16 m0, s0
// GFX13: s_cmp_lt_f16 m0, s0                     ; encoding: [0x7d,0x00,0x51,0xbf]

s_cmp_lt_f16 null, s0
// GFX13: s_cmp_lt_f16 null, s0                   ; encoding: [0x7c,0x00,0x51,0xbf]

s_cmp_lt_f16 0, s0
// GFX13: s_cmp_lt_f16 0, s0                      ; encoding: [0x80,0x00,0x51,0xbf]

s_cmp_lt_f16 0.5, s0
// GFX13: s_cmp_lt_f16 0.5, s0                    ; encoding: [0xf0,0x00,0x51,0xbf]

s_cmp_lt_f16 0x1234, s0
// GFX13: s_cmp_lt_f16 0x1234, s0                 ; encoding: [0xff,0x00,0x51,0xbf,0x34,0x12,0x00,0x00]

s_cmp_lt_f16 s0, s105
// GFX13: s_cmp_lt_f16 s0, s105                   ; encoding: [0x00,0x69,0x51,0xbf]

s_cmp_lt_f16 s0, vcc_lo
// GFX13: s_cmp_lt_f16 s0, vcc_lo                 ; encoding: [0x00,0x6a,0x51,0xbf]

s_cmp_lt_f16 s0, exec_lo
// GFX13: s_cmp_lt_f16 s0, exec_lo                ; encoding: [0x00,0x7e,0x51,0xbf]

s_cmp_lt_f16 s0, m0
// GFX13: s_cmp_lt_f16 s0, m0                     ; encoding: [0x00,0x7d,0x51,0xbf]

s_cmp_lt_f16 s0, null
// GFX13: s_cmp_lt_f16 s0, null                   ; encoding: [0x00,0x7c,0x51,0xbf]

s_cmp_lt_f16 s0, 0
// GFX13: s_cmp_lt_f16 s0, 0                      ; encoding: [0x00,0x80,0x51,0xbf]

s_cmp_lt_f16 s0, 0.5
// GFX13: s_cmp_lt_f16 s0, 0.5                    ; encoding: [0x00,0xf0,0x51,0xbf]

s_cmp_lt_f16 s0, 0x1234
// GFX13: s_cmp_lt_f16 s0, 0x1234                 ; encoding: [0x00,0xff,0x51,0xbf,0x34,0x12,0x00,0x00]

s_cmp_eq_f16 s0, s0
// GFX13: s_cmp_eq_f16 s0, s0                     ; encoding: [0x00,0x00,0x52,0xbf]

s_cmp_eq_f16 s105, s0
// GFX13: s_cmp_eq_f16 s105, s0                   ; encoding: [0x69,0x00,0x52,0xbf]

s_cmp_eq_f16 vcc_lo, s0
// GFX13: s_cmp_eq_f16 vcc_lo, s0                 ; encoding: [0x6a,0x00,0x52,0xbf]

s_cmp_eq_f16 exec_lo, s0
// GFX13: s_cmp_eq_f16 exec_lo, s0                ; encoding: [0x7e,0x00,0x52,0xbf]

s_cmp_eq_f16 m0, s0
// GFX13: s_cmp_eq_f16 m0, s0                     ; encoding: [0x7d,0x00,0x52,0xbf]

s_cmp_eq_f16 null, s0
// GFX13: s_cmp_eq_f16 null, s0                   ; encoding: [0x7c,0x00,0x52,0xbf]

s_cmp_eq_f16 0, s0
// GFX13: s_cmp_eq_f16 0, s0                      ; encoding: [0x80,0x00,0x52,0xbf]

s_cmp_eq_f16 0.5, s0
// GFX13: s_cmp_eq_f16 0.5, s0                    ; encoding: [0xf0,0x00,0x52,0xbf]

s_cmp_eq_f16 0x1234, s0
// GFX13: s_cmp_eq_f16 0x1234, s0                 ; encoding: [0xff,0x00,0x52,0xbf,0x34,0x12,0x00,0x00]

s_cmp_eq_f16 s0, s105
// GFX13: s_cmp_eq_f16 s0, s105                   ; encoding: [0x00,0x69,0x52,0xbf]

s_cmp_eq_f16 s0, vcc_lo
// GFX13: s_cmp_eq_f16 s0, vcc_lo                 ; encoding: [0x00,0x6a,0x52,0xbf]

s_cmp_eq_f16 s0, exec_lo
// GFX13: s_cmp_eq_f16 s0, exec_lo                ; encoding: [0x00,0x7e,0x52,0xbf]

s_cmp_eq_f16 s0, m0
// GFX13: s_cmp_eq_f16 s0, m0                     ; encoding: [0x00,0x7d,0x52,0xbf]

s_cmp_eq_f16 s0, null
// GFX13: s_cmp_eq_f16 s0, null                   ; encoding: [0x00,0x7c,0x52,0xbf]

s_cmp_eq_f16 s0, 0
// GFX13: s_cmp_eq_f16 s0, 0                      ; encoding: [0x00,0x80,0x52,0xbf]

s_cmp_eq_f16 s0, 0.5
// GFX13: s_cmp_eq_f16 s0, 0.5                    ; encoding: [0x00,0xf0,0x52,0xbf]

s_cmp_eq_f16 s0, 0x1234
// GFX13: s_cmp_eq_f16 s0, 0x1234                 ; encoding: [0x00,0xff,0x52,0xbf,0x34,0x12,0x00,0x00]

s_cmp_le_f16 s0, s0
// GFX13: s_cmp_le_f16 s0, s0                     ; encoding: [0x00,0x00,0x53,0xbf]

s_cmp_le_f16 s105, s0
// GFX13: s_cmp_le_f16 s105, s0                   ; encoding: [0x69,0x00,0x53,0xbf]

s_cmp_le_f16 vcc_lo, s0
// GFX13: s_cmp_le_f16 vcc_lo, s0                 ; encoding: [0x6a,0x00,0x53,0xbf]

s_cmp_le_f16 exec_lo, s0
// GFX13: s_cmp_le_f16 exec_lo, s0                ; encoding: [0x7e,0x00,0x53,0xbf]

s_cmp_le_f16 m0, s0
// GFX13: s_cmp_le_f16 m0, s0                     ; encoding: [0x7d,0x00,0x53,0xbf]

s_cmp_le_f16 null, s0
// GFX13: s_cmp_le_f16 null, s0                   ; encoding: [0x7c,0x00,0x53,0xbf]

s_cmp_le_f16 0, s0
// GFX13: s_cmp_le_f16 0, s0                      ; encoding: [0x80,0x00,0x53,0xbf]

s_cmp_le_f16 0.5, s0
// GFX13: s_cmp_le_f16 0.5, s0                    ; encoding: [0xf0,0x00,0x53,0xbf]

s_cmp_le_f16 0x1234, s0
// GFX13: s_cmp_le_f16 0x1234, s0                 ; encoding: [0xff,0x00,0x53,0xbf,0x34,0x12,0x00,0x00]

s_cmp_le_f16 s0, s105
// GFX13: s_cmp_le_f16 s0, s105                   ; encoding: [0x00,0x69,0x53,0xbf]

s_cmp_le_f16 s0, vcc_lo
// GFX13: s_cmp_le_f16 s0, vcc_lo                 ; encoding: [0x00,0x6a,0x53,0xbf]

s_cmp_le_f16 s0, exec_lo
// GFX13: s_cmp_le_f16 s0, exec_lo                ; encoding: [0x00,0x7e,0x53,0xbf]

s_cmp_le_f16 s0, m0
// GFX13: s_cmp_le_f16 s0, m0                     ; encoding: [0x00,0x7d,0x53,0xbf]

s_cmp_le_f16 s0, null
// GFX13: s_cmp_le_f16 s0, null                   ; encoding: [0x00,0x7c,0x53,0xbf]

s_cmp_le_f16 s0, 0
// GFX13: s_cmp_le_f16 s0, 0                      ; encoding: [0x00,0x80,0x53,0xbf]

s_cmp_le_f16 s0, 0.5
// GFX13: s_cmp_le_f16 s0, 0.5                    ; encoding: [0x00,0xf0,0x53,0xbf]

s_cmp_le_f16 s0, 0x1234
// GFX13: s_cmp_le_f16 s0, 0x1234                 ; encoding: [0x00,0xff,0x53,0xbf,0x34,0x12,0x00,0x00]

s_cmp_gt_f16 s0, s0
// GFX13: s_cmp_gt_f16 s0, s0                     ; encoding: [0x00,0x00,0x54,0xbf]

s_cmp_gt_f16 s105, s0
// GFX13: s_cmp_gt_f16 s105, s0                   ; encoding: [0x69,0x00,0x54,0xbf]

s_cmp_gt_f16 vcc_lo, s0
// GFX13: s_cmp_gt_f16 vcc_lo, s0                 ; encoding: [0x6a,0x00,0x54,0xbf]

s_cmp_gt_f16 exec_lo, s0
// GFX13: s_cmp_gt_f16 exec_lo, s0                ; encoding: [0x7e,0x00,0x54,0xbf]

s_cmp_gt_f16 m0, s0
// GFX13: s_cmp_gt_f16 m0, s0                     ; encoding: [0x7d,0x00,0x54,0xbf]

s_cmp_gt_f16 null, s0
// GFX13: s_cmp_gt_f16 null, s0                   ; encoding: [0x7c,0x00,0x54,0xbf]

s_cmp_gt_f16 0, s0
// GFX13: s_cmp_gt_f16 0, s0                      ; encoding: [0x80,0x00,0x54,0xbf]

s_cmp_gt_f16 0.5, s0
// GFX13: s_cmp_gt_f16 0.5, s0                    ; encoding: [0xf0,0x00,0x54,0xbf]

s_cmp_gt_f16 0x1234, s0
// GFX13: s_cmp_gt_f16 0x1234, s0                 ; encoding: [0xff,0x00,0x54,0xbf,0x34,0x12,0x00,0x00]

s_cmp_gt_f16 s0, s105
// GFX13: s_cmp_gt_f16 s0, s105                   ; encoding: [0x00,0x69,0x54,0xbf]

s_cmp_gt_f16 s0, vcc_lo
// GFX13: s_cmp_gt_f16 s0, vcc_lo                 ; encoding: [0x00,0x6a,0x54,0xbf]

s_cmp_gt_f16 s0, exec_lo
// GFX13: s_cmp_gt_f16 s0, exec_lo                ; encoding: [0x00,0x7e,0x54,0xbf]

s_cmp_gt_f16 s0, m0
// GFX13: s_cmp_gt_f16 s0, m0                     ; encoding: [0x00,0x7d,0x54,0xbf]

s_cmp_gt_f16 s0, null
// GFX13: s_cmp_gt_f16 s0, null                   ; encoding: [0x00,0x7c,0x54,0xbf]

s_cmp_gt_f16 s0, 0
// GFX13: s_cmp_gt_f16 s0, 0                      ; encoding: [0x00,0x80,0x54,0xbf]

s_cmp_gt_f16 s0, 0.5
// GFX13: s_cmp_gt_f16 s0, 0.5                    ; encoding: [0x00,0xf0,0x54,0xbf]

s_cmp_gt_f16 s0, 0x1234
// GFX13: s_cmp_gt_f16 s0, 0x1234                 ; encoding: [0x00,0xff,0x54,0xbf,0x34,0x12,0x00,0x00]

s_cmp_lg_f16 s0, s0
// GFX13: s_cmp_lg_f16 s0, s0                     ; encoding: [0x00,0x00,0x55,0xbf]

s_cmp_lg_f16 s105, s0
// GFX13: s_cmp_lg_f16 s105, s0                   ; encoding: [0x69,0x00,0x55,0xbf]

s_cmp_lg_f16 vcc_lo, s0
// GFX13: s_cmp_lg_f16 vcc_lo, s0                 ; encoding: [0x6a,0x00,0x55,0xbf]

s_cmp_lg_f16 exec_lo, s0
// GFX13: s_cmp_lg_f16 exec_lo, s0                ; encoding: [0x7e,0x00,0x55,0xbf]

s_cmp_lg_f16 m0, s0
// GFX13: s_cmp_lg_f16 m0, s0                     ; encoding: [0x7d,0x00,0x55,0xbf]

s_cmp_lg_f16 null, s0
// GFX13: s_cmp_lg_f16 null, s0                   ; encoding: [0x7c,0x00,0x55,0xbf]

s_cmp_lg_f16 0, s0
// GFX13: s_cmp_lg_f16 0, s0                      ; encoding: [0x80,0x00,0x55,0xbf]

s_cmp_lg_f16 0.5, s0
// GFX13: s_cmp_lg_f16 0.5, s0                    ; encoding: [0xf0,0x00,0x55,0xbf]

s_cmp_lg_f16 0x1234, s0
// GFX13: s_cmp_lg_f16 0x1234, s0                 ; encoding: [0xff,0x00,0x55,0xbf,0x34,0x12,0x00,0x00]

s_cmp_lg_f16 s0, s105
// GFX13: s_cmp_lg_f16 s0, s105                   ; encoding: [0x00,0x69,0x55,0xbf]

s_cmp_lg_f16 s0, vcc_lo
// GFX13: s_cmp_lg_f16 s0, vcc_lo                 ; encoding: [0x00,0x6a,0x55,0xbf]

s_cmp_lg_f16 s0, exec_lo
// GFX13: s_cmp_lg_f16 s0, exec_lo                ; encoding: [0x00,0x7e,0x55,0xbf]

s_cmp_lg_f16 s0, m0
// GFX13: s_cmp_lg_f16 s0, m0                     ; encoding: [0x00,0x7d,0x55,0xbf]

s_cmp_lg_f16 s0, null
// GFX13: s_cmp_lg_f16 s0, null                   ; encoding: [0x00,0x7c,0x55,0xbf]

s_cmp_lg_f16 s0, 0
// GFX13: s_cmp_lg_f16 s0, 0                      ; encoding: [0x00,0x80,0x55,0xbf]

s_cmp_lg_f16 s0, 0.5
// GFX13: s_cmp_lg_f16 s0, 0.5                    ; encoding: [0x00,0xf0,0x55,0xbf]

s_cmp_lg_f16 s0, 0x1234
// GFX13: s_cmp_lg_f16 s0, 0x1234                 ; encoding: [0x00,0xff,0x55,0xbf,0x34,0x12,0x00,0x00]

s_cmp_ge_f16 s0, s0
// GFX13: s_cmp_ge_f16 s0, s0                     ; encoding: [0x00,0x00,0x56,0xbf]

s_cmp_ge_f16 s105, s0
// GFX13: s_cmp_ge_f16 s105, s0                   ; encoding: [0x69,0x00,0x56,0xbf]

s_cmp_ge_f16 vcc_lo, s0
// GFX13: s_cmp_ge_f16 vcc_lo, s0                 ; encoding: [0x6a,0x00,0x56,0xbf]

s_cmp_ge_f16 exec_lo, s0
// GFX13: s_cmp_ge_f16 exec_lo, s0                ; encoding: [0x7e,0x00,0x56,0xbf]

s_cmp_ge_f16 m0, s0
// GFX13: s_cmp_ge_f16 m0, s0                     ; encoding: [0x7d,0x00,0x56,0xbf]

s_cmp_ge_f16 null, s0
// GFX13: s_cmp_ge_f16 null, s0                   ; encoding: [0x7c,0x00,0x56,0xbf]

s_cmp_ge_f16 0, s0
// GFX13: s_cmp_ge_f16 0, s0                      ; encoding: [0x80,0x00,0x56,0xbf]

s_cmp_ge_f16 0.5, s0
// GFX13: s_cmp_ge_f16 0.5, s0                    ; encoding: [0xf0,0x00,0x56,0xbf]

s_cmp_ge_f16 0x1234, s0
// GFX13: s_cmp_ge_f16 0x1234, s0                 ; encoding: [0xff,0x00,0x56,0xbf,0x34,0x12,0x00,0x00]

s_cmp_ge_f16 s0, s105
// GFX13: s_cmp_ge_f16 s0, s105                   ; encoding: [0x00,0x69,0x56,0xbf]

s_cmp_ge_f16 s0, vcc_lo
// GFX13: s_cmp_ge_f16 s0, vcc_lo                 ; encoding: [0x00,0x6a,0x56,0xbf]

s_cmp_ge_f16 s0, exec_lo
// GFX13: s_cmp_ge_f16 s0, exec_lo                ; encoding: [0x00,0x7e,0x56,0xbf]

s_cmp_ge_f16 s0, m0
// GFX13: s_cmp_ge_f16 s0, m0                     ; encoding: [0x00,0x7d,0x56,0xbf]

s_cmp_ge_f16 s0, null
// GFX13: s_cmp_ge_f16 s0, null                   ; encoding: [0x00,0x7c,0x56,0xbf]

s_cmp_ge_f16 s0, 0
// GFX13: s_cmp_ge_f16 s0, 0                      ; encoding: [0x00,0x80,0x56,0xbf]

s_cmp_ge_f16 s0, 0.5
// GFX13: s_cmp_ge_f16 s0, 0.5                    ; encoding: [0x00,0xf0,0x56,0xbf]

s_cmp_ge_f16 s0, 0x1234
// GFX13: s_cmp_ge_f16 s0, 0x1234                 ; encoding: [0x00,0xff,0x56,0xbf,0x34,0x12,0x00,0x00]

s_cmp_o_f16 s0, s0
// GFX13: s_cmp_o_f16 s0, s0                      ; encoding: [0x00,0x00,0x57,0xbf]

s_cmp_o_f16 s105, s0
// GFX13: s_cmp_o_f16 s105, s0                    ; encoding: [0x69,0x00,0x57,0xbf]

s_cmp_o_f16 vcc_lo, s0
// GFX13: s_cmp_o_f16 vcc_lo, s0                  ; encoding: [0x6a,0x00,0x57,0xbf]

s_cmp_o_f16 exec_lo, s0
// GFX13: s_cmp_o_f16 exec_lo, s0                 ; encoding: [0x7e,0x00,0x57,0xbf]

s_cmp_o_f16 m0, s0
// GFX13: s_cmp_o_f16 m0, s0                      ; encoding: [0x7d,0x00,0x57,0xbf]

s_cmp_o_f16 null, s0
// GFX13: s_cmp_o_f16 null, s0                    ; encoding: [0x7c,0x00,0x57,0xbf]

s_cmp_o_f16 0, s0
// GFX13: s_cmp_o_f16 0, s0                       ; encoding: [0x80,0x00,0x57,0xbf]

s_cmp_o_f16 0.5, s0
// GFX13: s_cmp_o_f16 0.5, s0                     ; encoding: [0xf0,0x00,0x57,0xbf]

s_cmp_o_f16 0x1234, s0
// GFX13: s_cmp_o_f16 0x1234, s0                  ; encoding: [0xff,0x00,0x57,0xbf,0x34,0x12,0x00,0x00]

s_cmp_o_f16 s0, s105
// GFX13: s_cmp_o_f16 s0, s105                    ; encoding: [0x00,0x69,0x57,0xbf]

s_cmp_o_f16 s0, vcc_lo
// GFX13: s_cmp_o_f16 s0, vcc_lo                  ; encoding: [0x00,0x6a,0x57,0xbf]

s_cmp_o_f16 s0, exec_lo
// GFX13: s_cmp_o_f16 s0, exec_lo                 ; encoding: [0x00,0x7e,0x57,0xbf]

s_cmp_o_f16 s0, m0
// GFX13: s_cmp_o_f16 s0, m0                      ; encoding: [0x00,0x7d,0x57,0xbf]

s_cmp_o_f16 s0, null
// GFX13: s_cmp_o_f16 s0, null                    ; encoding: [0x00,0x7c,0x57,0xbf]

s_cmp_o_f16 s0, 0
// GFX13: s_cmp_o_f16 s0, 0                       ; encoding: [0x00,0x80,0x57,0xbf]

s_cmp_o_f16 s0, 0.5
// GFX13: s_cmp_o_f16 s0, 0.5                     ; encoding: [0x00,0xf0,0x57,0xbf]

s_cmp_o_f16 s0, 0x1234
// GFX13: s_cmp_o_f16 s0, 0x1234                  ; encoding: [0x00,0xff,0x57,0xbf,0x34,0x12,0x00,0x00]

s_cmp_u_f16 s0, s0
// GFX13: s_cmp_u_f16 s0, s0                      ; encoding: [0x00,0x00,0x58,0xbf]

s_cmp_u_f16 s105, s0
// GFX13: s_cmp_u_f16 s105, s0                    ; encoding: [0x69,0x00,0x58,0xbf]

s_cmp_u_f16 vcc_lo, s0
// GFX13: s_cmp_u_f16 vcc_lo, s0                  ; encoding: [0x6a,0x00,0x58,0xbf]

s_cmp_u_f16 exec_lo, s0
// GFX13: s_cmp_u_f16 exec_lo, s0                 ; encoding: [0x7e,0x00,0x58,0xbf]

s_cmp_u_f16 m0, s0
// GFX13: s_cmp_u_f16 m0, s0                      ; encoding: [0x7d,0x00,0x58,0xbf]

s_cmp_u_f16 null, s0
// GFX13: s_cmp_u_f16 null, s0                    ; encoding: [0x7c,0x00,0x58,0xbf]

s_cmp_u_f16 0, s0
// GFX13: s_cmp_u_f16 0, s0                       ; encoding: [0x80,0x00,0x58,0xbf]

s_cmp_u_f16 0.5, s0
// GFX13: s_cmp_u_f16 0.5, s0                     ; encoding: [0xf0,0x00,0x58,0xbf]

s_cmp_u_f16 0x1234, s0
// GFX13: s_cmp_u_f16 0x1234, s0                  ; encoding: [0xff,0x00,0x58,0xbf,0x34,0x12,0x00,0x00]

s_cmp_u_f16 s0, s105
// GFX13: s_cmp_u_f16 s0, s105                    ; encoding: [0x00,0x69,0x58,0xbf]

s_cmp_u_f16 s0, vcc_lo
// GFX13: s_cmp_u_f16 s0, vcc_lo                  ; encoding: [0x00,0x6a,0x58,0xbf]

s_cmp_u_f16 s0, exec_lo
// GFX13: s_cmp_u_f16 s0, exec_lo                 ; encoding: [0x00,0x7e,0x58,0xbf]

s_cmp_u_f16 s0, m0
// GFX13: s_cmp_u_f16 s0, m0                      ; encoding: [0x00,0x7d,0x58,0xbf]

s_cmp_u_f16 s0, null
// GFX13: s_cmp_u_f16 s0, null                    ; encoding: [0x00,0x7c,0x58,0xbf]

s_cmp_u_f16 s0, 0
// GFX13: s_cmp_u_f16 s0, 0                       ; encoding: [0x00,0x80,0x58,0xbf]

s_cmp_u_f16 s0, 0.5
// GFX13: s_cmp_u_f16 s0, 0.5                     ; encoding: [0x00,0xf0,0x58,0xbf]

s_cmp_u_f16 s0, 0x1234
// GFX13: s_cmp_u_f16 s0, 0x1234                  ; encoding: [0x00,0xff,0x58,0xbf,0x34,0x12,0x00,0x00]

s_cmp_nge_f16 s0, s0
// GFX13: s_cmp_nge_f16 s0, s0                    ; encoding: [0x00,0x00,0x59,0xbf]

s_cmp_nge_f16 s105, s0
// GFX13: s_cmp_nge_f16 s105, s0                  ; encoding: [0x69,0x00,0x59,0xbf]

s_cmp_nge_f16 vcc_lo, s0
// GFX13: s_cmp_nge_f16 vcc_lo, s0                ; encoding: [0x6a,0x00,0x59,0xbf]

s_cmp_nge_f16 exec_lo, s0
// GFX13: s_cmp_nge_f16 exec_lo, s0               ; encoding: [0x7e,0x00,0x59,0xbf]

s_cmp_nge_f16 m0, s0
// GFX13: s_cmp_nge_f16 m0, s0                    ; encoding: [0x7d,0x00,0x59,0xbf]

s_cmp_nge_f16 null, s0
// GFX13: s_cmp_nge_f16 null, s0                  ; encoding: [0x7c,0x00,0x59,0xbf]

s_cmp_nge_f16 0, s0
// GFX13: s_cmp_nge_f16 0, s0                     ; encoding: [0x80,0x00,0x59,0xbf]

s_cmp_nge_f16 0.5, s0
// GFX13: s_cmp_nge_f16 0.5, s0                   ; encoding: [0xf0,0x00,0x59,0xbf]

s_cmp_nge_f16 0x1234, s0
// GFX13: s_cmp_nge_f16 0x1234, s0                ; encoding: [0xff,0x00,0x59,0xbf,0x34,0x12,0x00,0x00]

s_cmp_nge_f16 s0, s105
// GFX13: s_cmp_nge_f16 s0, s105                  ; encoding: [0x00,0x69,0x59,0xbf]

s_cmp_nge_f16 s0, vcc_lo
// GFX13: s_cmp_nge_f16 s0, vcc_lo                ; encoding: [0x00,0x6a,0x59,0xbf]

s_cmp_nge_f16 s0, exec_lo
// GFX13: s_cmp_nge_f16 s0, exec_lo               ; encoding: [0x00,0x7e,0x59,0xbf]

s_cmp_nge_f16 s0, m0
// GFX13: s_cmp_nge_f16 s0, m0                    ; encoding: [0x00,0x7d,0x59,0xbf]

s_cmp_nge_f16 s0, null
// GFX13: s_cmp_nge_f16 s0, null                  ; encoding: [0x00,0x7c,0x59,0xbf]

s_cmp_nge_f16 s0, 0
// GFX13: s_cmp_nge_f16 s0, 0                     ; encoding: [0x00,0x80,0x59,0xbf]

s_cmp_nge_f16 s0, 0.5
// GFX13: s_cmp_nge_f16 s0, 0.5                   ; encoding: [0x00,0xf0,0x59,0xbf]

s_cmp_nge_f16 s0, 0x1234
// GFX13: s_cmp_nge_f16 s0, 0x1234                ; encoding: [0x00,0xff,0x59,0xbf,0x34,0x12,0x00,0x00]

s_cmp_nlg_f16 s0, s0
// GFX13: s_cmp_nlg_f16 s0, s0                    ; encoding: [0x00,0x00,0x5a,0xbf]

s_cmp_nlg_f16 s105, s0
// GFX13: s_cmp_nlg_f16 s105, s0                  ; encoding: [0x69,0x00,0x5a,0xbf]

s_cmp_nlg_f16 vcc_lo, s0
// GFX13: s_cmp_nlg_f16 vcc_lo, s0                ; encoding: [0x6a,0x00,0x5a,0xbf]

s_cmp_nlg_f16 exec_lo, s0
// GFX13: s_cmp_nlg_f16 exec_lo, s0               ; encoding: [0x7e,0x00,0x5a,0xbf]

s_cmp_nlg_f16 m0, s0
// GFX13: s_cmp_nlg_f16 m0, s0                    ; encoding: [0x7d,0x00,0x5a,0xbf]

s_cmp_nlg_f16 null, s0
// GFX13: s_cmp_nlg_f16 null, s0                  ; encoding: [0x7c,0x00,0x5a,0xbf]

s_cmp_nlg_f16 0, s0
// GFX13: s_cmp_nlg_f16 0, s0                     ; encoding: [0x80,0x00,0x5a,0xbf]

s_cmp_nlg_f16 0.5, s0
// GFX13: s_cmp_nlg_f16 0.5, s0                   ; encoding: [0xf0,0x00,0x5a,0xbf]

s_cmp_nlg_f16 0x1234, s0
// GFX13: s_cmp_nlg_f16 0x1234, s0                ; encoding: [0xff,0x00,0x5a,0xbf,0x34,0x12,0x00,0x00]

s_cmp_nlg_f16 s0, s105
// GFX13: s_cmp_nlg_f16 s0, s105                  ; encoding: [0x00,0x69,0x5a,0xbf]

s_cmp_nlg_f16 s0, vcc_lo
// GFX13: s_cmp_nlg_f16 s0, vcc_lo                ; encoding: [0x00,0x6a,0x5a,0xbf]

s_cmp_nlg_f16 s0, exec_lo
// GFX13: s_cmp_nlg_f16 s0, exec_lo               ; encoding: [0x00,0x7e,0x5a,0xbf]

s_cmp_nlg_f16 s0, m0
// GFX13: s_cmp_nlg_f16 s0, m0                    ; encoding: [0x00,0x7d,0x5a,0xbf]

s_cmp_nlg_f16 s0, null
// GFX13: s_cmp_nlg_f16 s0, null                  ; encoding: [0x00,0x7c,0x5a,0xbf]

s_cmp_nlg_f16 s0, 0
// GFX13: s_cmp_nlg_f16 s0, 0                     ; encoding: [0x00,0x80,0x5a,0xbf]

s_cmp_nlg_f16 s0, 0.5
// GFX13: s_cmp_nlg_f16 s0, 0.5                   ; encoding: [0x00,0xf0,0x5a,0xbf]

s_cmp_nlg_f16 s0, 0x1234
// GFX13: s_cmp_nlg_f16 s0, 0x1234                ; encoding: [0x00,0xff,0x5a,0xbf,0x34,0x12,0x00,0x00]

s_cmp_ngt_f16 s0, s0
// GFX13: s_cmp_ngt_f16 s0, s0                    ; encoding: [0x00,0x00,0x5b,0xbf]

s_cmp_ngt_f16 s105, s0
// GFX13: s_cmp_ngt_f16 s105, s0                  ; encoding: [0x69,0x00,0x5b,0xbf]

s_cmp_ngt_f16 vcc_lo, s0
// GFX13: s_cmp_ngt_f16 vcc_lo, s0                ; encoding: [0x6a,0x00,0x5b,0xbf]

s_cmp_ngt_f16 exec_lo, s0
// GFX13: s_cmp_ngt_f16 exec_lo, s0               ; encoding: [0x7e,0x00,0x5b,0xbf]

s_cmp_ngt_f16 m0, s0
// GFX13: s_cmp_ngt_f16 m0, s0                    ; encoding: [0x7d,0x00,0x5b,0xbf]

s_cmp_ngt_f16 null, s0
// GFX13: s_cmp_ngt_f16 null, s0                  ; encoding: [0x7c,0x00,0x5b,0xbf]

s_cmp_ngt_f16 0, s0
// GFX13: s_cmp_ngt_f16 0, s0                     ; encoding: [0x80,0x00,0x5b,0xbf]

s_cmp_ngt_f16 0.5, s0
// GFX13: s_cmp_ngt_f16 0.5, s0                   ; encoding: [0xf0,0x00,0x5b,0xbf]

s_cmp_ngt_f16 0x1234, s0
// GFX13: s_cmp_ngt_f16 0x1234, s0                ; encoding: [0xff,0x00,0x5b,0xbf,0x34,0x12,0x00,0x00]

s_cmp_ngt_f16 s0, s105
// GFX13: s_cmp_ngt_f16 s0, s105                  ; encoding: [0x00,0x69,0x5b,0xbf]

s_cmp_ngt_f16 s0, vcc_lo
// GFX13: s_cmp_ngt_f16 s0, vcc_lo                ; encoding: [0x00,0x6a,0x5b,0xbf]

s_cmp_ngt_f16 s0, exec_lo
// GFX13: s_cmp_ngt_f16 s0, exec_lo               ; encoding: [0x00,0x7e,0x5b,0xbf]

s_cmp_ngt_f16 s0, m0
// GFX13: s_cmp_ngt_f16 s0, m0                    ; encoding: [0x00,0x7d,0x5b,0xbf]

s_cmp_ngt_f16 s0, null
// GFX13: s_cmp_ngt_f16 s0, null                  ; encoding: [0x00,0x7c,0x5b,0xbf]

s_cmp_ngt_f16 s0, 0
// GFX13: s_cmp_ngt_f16 s0, 0                     ; encoding: [0x00,0x80,0x5b,0xbf]

s_cmp_ngt_f16 s0, 0.5
// GFX13: s_cmp_ngt_f16 s0, 0.5                   ; encoding: [0x00,0xf0,0x5b,0xbf]

s_cmp_ngt_f16 s0, 0x1234
// GFX13: s_cmp_ngt_f16 s0, 0x1234                ; encoding: [0x00,0xff,0x5b,0xbf,0x34,0x12,0x00,0x00]

s_cmp_nle_f16 s0, s0
// GFX13: s_cmp_nle_f16 s0, s0                    ; encoding: [0x00,0x00,0x5c,0xbf]

s_cmp_nle_f16 s105, s0
// GFX13: s_cmp_nle_f16 s105, s0                  ; encoding: [0x69,0x00,0x5c,0xbf]

s_cmp_nle_f16 vcc_lo, s0
// GFX13: s_cmp_nle_f16 vcc_lo, s0                ; encoding: [0x6a,0x00,0x5c,0xbf]

s_cmp_nle_f16 exec_lo, s0
// GFX13: s_cmp_nle_f16 exec_lo, s0               ; encoding: [0x7e,0x00,0x5c,0xbf]

s_cmp_nle_f16 m0, s0
// GFX13: s_cmp_nle_f16 m0, s0                    ; encoding: [0x7d,0x00,0x5c,0xbf]

s_cmp_nle_f16 null, s0
// GFX13: s_cmp_nle_f16 null, s0                  ; encoding: [0x7c,0x00,0x5c,0xbf]

s_cmp_nle_f16 0, s0
// GFX13: s_cmp_nle_f16 0, s0                     ; encoding: [0x80,0x00,0x5c,0xbf]

s_cmp_nle_f16 0.5, s0
// GFX13: s_cmp_nle_f16 0.5, s0                   ; encoding: [0xf0,0x00,0x5c,0xbf]

s_cmp_nle_f16 0x1234, s0
// GFX13: s_cmp_nle_f16 0x1234, s0                ; encoding: [0xff,0x00,0x5c,0xbf,0x34,0x12,0x00,0x00]

s_cmp_nle_f16 s0, s105
// GFX13: s_cmp_nle_f16 s0, s105                  ; encoding: [0x00,0x69,0x5c,0xbf]

s_cmp_nle_f16 s0, vcc_lo
// GFX13: s_cmp_nle_f16 s0, vcc_lo                ; encoding: [0x00,0x6a,0x5c,0xbf]

s_cmp_nle_f16 s0, exec_lo
// GFX13: s_cmp_nle_f16 s0, exec_lo               ; encoding: [0x00,0x7e,0x5c,0xbf]

s_cmp_nle_f16 s0, m0
// GFX13: s_cmp_nle_f16 s0, m0                    ; encoding: [0x00,0x7d,0x5c,0xbf]

s_cmp_nle_f16 s0, null
// GFX13: s_cmp_nle_f16 s0, null                  ; encoding: [0x00,0x7c,0x5c,0xbf]

s_cmp_nle_f16 s0, 0
// GFX13: s_cmp_nle_f16 s0, 0                     ; encoding: [0x00,0x80,0x5c,0xbf]

s_cmp_nle_f16 s0, 0.5
// GFX13: s_cmp_nle_f16 s0, 0.5                   ; encoding: [0x00,0xf0,0x5c,0xbf]

s_cmp_nle_f16 s0, 0x1234
// GFX13: s_cmp_nle_f16 s0, 0x1234                ; encoding: [0x00,0xff,0x5c,0xbf,0x34,0x12,0x00,0x00]

s_cmp_neq_f16 s0, s0
// GFX13: s_cmp_neq_f16 s0, s0                    ; encoding: [0x00,0x00,0x5d,0xbf]

s_cmp_neq_f16 s105, s0
// GFX13: s_cmp_neq_f16 s105, s0                  ; encoding: [0x69,0x00,0x5d,0xbf]

s_cmp_neq_f16 vcc_lo, s0
// GFX13: s_cmp_neq_f16 vcc_lo, s0                ; encoding: [0x6a,0x00,0x5d,0xbf]

s_cmp_neq_f16 exec_lo, s0
// GFX13: s_cmp_neq_f16 exec_lo, s0               ; encoding: [0x7e,0x00,0x5d,0xbf]

s_cmp_neq_f16 m0, s0
// GFX13: s_cmp_neq_f16 m0, s0                    ; encoding: [0x7d,0x00,0x5d,0xbf]

s_cmp_neq_f16 null, s0
// GFX13: s_cmp_neq_f16 null, s0                  ; encoding: [0x7c,0x00,0x5d,0xbf]

s_cmp_neq_f16 0, s0
// GFX13: s_cmp_neq_f16 0, s0                     ; encoding: [0x80,0x00,0x5d,0xbf]

s_cmp_neq_f16 0.5, s0
// GFX13: s_cmp_neq_f16 0.5, s0                   ; encoding: [0xf0,0x00,0x5d,0xbf]

s_cmp_neq_f16 0x1234, s0
// GFX13: s_cmp_neq_f16 0x1234, s0                ; encoding: [0xff,0x00,0x5d,0xbf,0x34,0x12,0x00,0x00]

s_cmp_neq_f16 s0, s105
// GFX13: s_cmp_neq_f16 s0, s105                  ; encoding: [0x00,0x69,0x5d,0xbf]

s_cmp_neq_f16 s0, vcc_lo
// GFX13: s_cmp_neq_f16 s0, vcc_lo                ; encoding: [0x00,0x6a,0x5d,0xbf]

s_cmp_neq_f16 s0, exec_lo
// GFX13: s_cmp_neq_f16 s0, exec_lo               ; encoding: [0x00,0x7e,0x5d,0xbf]

s_cmp_neq_f16 s0, m0
// GFX13: s_cmp_neq_f16 s0, m0                    ; encoding: [0x00,0x7d,0x5d,0xbf]

s_cmp_neq_f16 s0, null
// GFX13: s_cmp_neq_f16 s0, null                  ; encoding: [0x00,0x7c,0x5d,0xbf]

s_cmp_neq_f16 s0, 0
// GFX13: s_cmp_neq_f16 s0, 0                     ; encoding: [0x00,0x80,0x5d,0xbf]

s_cmp_neq_f16 s0, 0.5
// GFX13: s_cmp_neq_f16 s0, 0.5                   ; encoding: [0x00,0xf0,0x5d,0xbf]

s_cmp_neq_f16 s0, 0x1234
// GFX13: s_cmp_neq_f16 s0, 0x1234                ; encoding: [0x00,0xff,0x5d,0xbf,0x34,0x12,0x00,0x00]

s_cmp_nlt_f16 s0, s0
// GFX13: s_cmp_nlt_f16 s0, s0                    ; encoding: [0x00,0x00,0x5e,0xbf]

s_cmp_nlt_f16 s105, s0
// GFX13: s_cmp_nlt_f16 s105, s0                  ; encoding: [0x69,0x00,0x5e,0xbf]

s_cmp_nlt_f16 vcc_lo, s0
// GFX13: s_cmp_nlt_f16 vcc_lo, s0                ; encoding: [0x6a,0x00,0x5e,0xbf]

s_cmp_nlt_f16 exec_lo, s0
// GFX13: s_cmp_nlt_f16 exec_lo, s0               ; encoding: [0x7e,0x00,0x5e,0xbf]

s_cmp_nlt_f16 m0, s0
// GFX13: s_cmp_nlt_f16 m0, s0                    ; encoding: [0x7d,0x00,0x5e,0xbf]

s_cmp_nlt_f16 null, s0
// GFX13: s_cmp_nlt_f16 null, s0                  ; encoding: [0x7c,0x00,0x5e,0xbf]

s_cmp_nlt_f16 0, s0
// GFX13: s_cmp_nlt_f16 0, s0                     ; encoding: [0x80,0x00,0x5e,0xbf]

s_cmp_nlt_f16 0.5, s0
// GFX13: s_cmp_nlt_f16 0.5, s0                   ; encoding: [0xf0,0x00,0x5e,0xbf]

s_cmp_nlt_f16 0x1234, s0
// GFX13: s_cmp_nlt_f16 0x1234, s0                ; encoding: [0xff,0x00,0x5e,0xbf,0x34,0x12,0x00,0x00]

s_cmp_nlt_f16 s0, s105
// GFX13: s_cmp_nlt_f16 s0, s105                  ; encoding: [0x00,0x69,0x5e,0xbf]

s_cmp_nlt_f16 s0, vcc_lo
// GFX13: s_cmp_nlt_f16 s0, vcc_lo                ; encoding: [0x00,0x6a,0x5e,0xbf]

s_cmp_nlt_f16 s0, exec_lo
// GFX13: s_cmp_nlt_f16 s0, exec_lo               ; encoding: [0x00,0x7e,0x5e,0xbf]

s_cmp_nlt_f16 s0, m0
// GFX13: s_cmp_nlt_f16 s0, m0                    ; encoding: [0x00,0x7d,0x5e,0xbf]

s_cmp_nlt_f16 s0, null
// GFX13: s_cmp_nlt_f16 s0, null                  ; encoding: [0x00,0x7c,0x5e,0xbf]

s_cmp_nlt_f16 s0, 0
// GFX13: s_cmp_nlt_f16 s0, 0                     ; encoding: [0x00,0x80,0x5e,0xbf]

s_cmp_nlt_f16 s0, 0.5
// GFX13: s_cmp_nlt_f16 s0, 0.5                   ; encoding: [0x00,0xf0,0x5e,0xbf]

s_cmp_nlt_f16 s0, 0x1234
// GFX13: s_cmp_nlt_f16 s0, 0x1234                ; encoding: [0x00,0xff,0x5e,0xbf,0x34,0x12,0x00,0x00]

//// NOTE: These prefixes are unused and the list is autogenerated. Do not add tests below this line:
// GFX13-ASM: {{.*}}
// GFX13-DIS: {{.*}}
